;; amdgpu-corpus repo=ROCm/rocFFT kind=compiled arch=gfx1030 opt=O3
	.text
	.amdgcn_target "amdgcn-amd-amdhsa--gfx1030"
	.amdhsa_code_object_version 6
	.protected	bluestein_single_back_len1020_dim1_half_op_CI_CI ; -- Begin function bluestein_single_back_len1020_dim1_half_op_CI_CI
	.globl	bluestein_single_back_len1020_dim1_half_op_CI_CI
	.p2align	8
	.type	bluestein_single_back_len1020_dim1_half_op_CI_CI,@function
bluestein_single_back_len1020_dim1_half_op_CI_CI: ; @bluestein_single_back_len1020_dim1_half_op_CI_CI
; %bb.0:
	s_load_dwordx4 s[8:11], s[4:5], 0x28
	v_mul_u32_u24_e32 v1, 0x3c4, v0
	s_mov_b32 s0, exec_lo
	v_lshrrev_b32_e32 v1, 16, v1
	v_mad_u64_u32 v[32:33], null, s6, 3, v[1:2]
	v_mov_b32_e32 v33, 0
	s_waitcnt lgkmcnt(0)
	v_cmpx_gt_u64_e64 s[8:9], v[32:33]
	s_cbranch_execz .LBB0_31
; %bb.1:
	s_clause 0x1
	s_load_dwordx4 s[0:3], s[4:5], 0x18
	s_load_dwordx2 s[6:7], s[4:5], 0x0
	v_mul_lo_u16 v1, 0x44, v1
	v_sub_nc_u16 v7, v0, v1
	v_and_b32_e32 v78, 0xffff, v7
	v_lshlrev_b32_e32 v8, 2, v78
	s_waitcnt lgkmcnt(0)
	s_load_dwordx4 s[12:15], s[0:1], 0x0
	v_add_co_u32 v30, s0, s6, v8
	v_add_co_ci_u32_e64 v31, null, s7, 0, s0
	s_waitcnt lgkmcnt(0)
	v_mad_u64_u32 v[0:1], null, s14, v32, 0
	v_mad_u64_u32 v[2:3], null, s12, v78, 0
	s_mul_i32 s1, s13, 0x1fe
	s_mul_hi_u32 s9, s12, 0x1fe
	s_mul_i32 s0, s12, 0x1fe
	s_mul_i32 s14, s13, 0xfffffe46
	s_add_i32 s1, s9, s1
	s_mul_i32 s8, s12, 0xfffffe46
	v_mad_u64_u32 v[4:5], null, s15, v32, v[1:2]
	v_mad_u64_u32 v[5:6], null, s13, v78, v[3:4]
	v_mov_b32_e32 v1, v4
	s_mul_hi_u32 s13, s12, 0xfffffe46
	s_sub_i32 s9, s13, s12
	s_lshl_b64 s[12:13], s[0:1], 2
	v_lshlrev_b64 v[0:1], 2, v[0:1]
	v_mov_b32_e32 v3, v5
	s_add_i32 s9, s9, s14
	s_lshl_b64 s[0:1], s[8:9], 2
	v_lshlrev_b64 v[2:3], 2, v[2:3]
	v_add_co_u32 v0, vcc_lo, s10, v0
	v_add_co_ci_u32_e32 v1, vcc_lo, s11, v1, vcc_lo
	v_add_co_u32 v0, vcc_lo, v0, v2
	v_add_co_ci_u32_e32 v1, vcc_lo, v1, v3, vcc_lo
	;; [unrolled: 2-line block ×3, first 2 shown]
	global_load_dword v4, v[0:1], off
	v_add_co_u32 v0, vcc_lo, v2, s0
	v_add_co_ci_u32_e32 v1, vcc_lo, s1, v3, vcc_lo
	s_clause 0x2
	global_load_dword v79, v8, s[6:7] offset:2040
	global_load_dword v80, v8, s[6:7]
	global_load_dword v77, v8, s[6:7] offset:272
	s_clause 0x1
	global_load_dword v5, v[2:3], off
	global_load_dword v6, v[0:1], off
	v_add_co_u32 v0, vcc_lo, v0, s12
	v_add_co_ci_u32_e32 v1, vcc_lo, s13, v1, vcc_lo
	v_add_co_u32 v28, vcc_lo, 0x800, v30
	v_add_co_ci_u32_e32 v29, vcc_lo, 0, v31, vcc_lo
	global_load_dword v9, v[0:1], off
	v_add_co_u32 v0, vcc_lo, v0, s0
	v_add_co_ci_u32_e32 v1, vcc_lo, s1, v1, vcc_lo
	global_load_dword v76, v[28:29], off offset:264
	v_add_co_u32 v2, vcc_lo, v0, s12
	v_add_co_ci_u32_e32 v3, vcc_lo, s13, v1, vcc_lo
	global_load_dword v11, v[0:1], off
	s_clause 0x1
	global_load_dword v75, v8, s[6:7] offset:544
	global_load_dword v73, v8, s[6:7] offset:816
	global_load_dword v12, v[2:3], off
	v_add_co_u32 v0, vcc_lo, v2, s0
	v_add_co_ci_u32_e32 v1, vcc_lo, s1, v3, vcc_lo
	global_load_dword v74, v[28:29], off offset:536
	v_add_co_u32 v2, vcc_lo, v0, s12
	v_add_co_ci_u32_e32 v3, vcc_lo, s13, v1, vcc_lo
	global_load_dword v13, v[0:1], off
	v_add_co_u32 v0, vcc_lo, v2, s0
	v_add_co_ci_u32_e32 v1, vcc_lo, s1, v3, vcc_lo
	global_load_dword v72, v[28:29], off offset:808
	global_load_dword v14, v[2:3], off
	s_clause 0x1
	global_load_dword v71, v8, s[6:7] offset:1088
	global_load_dword v69, v8, s[6:7] offset:1360
	global_load_dword v15, v[0:1], off
	v_add_co_u32 v0, vcc_lo, v0, s12
	v_add_co_ci_u32_e32 v1, vcc_lo, s13, v1, vcc_lo
	global_load_dword v70, v[28:29], off offset:1080
	v_add_co_u32 v2, vcc_lo, v0, s0
	v_add_co_ci_u32_e32 v3, vcc_lo, s1, v1, vcc_lo
	global_load_dword v16, v[0:1], off
	v_add_co_u32 v0, vcc_lo, v2, s12
	v_add_co_ci_u32_e32 v1, vcc_lo, s13, v3, vcc_lo
	global_load_dword v17, v[2:3], off
	;; [unrolled: 3-line block ×3, first 2 shown]
	v_add_co_u32 v0, vcc_lo, v2, s12
	v_add_co_ci_u32_e32 v1, vcc_lo, s13, v3, vcc_lo
	global_load_dword v68, v[28:29], off offset:1352
	global_load_dword v19, v[2:3], off
	global_load_dword v20, v[0:1], off
	s_clause 0x1
	global_load_dword v67, v8, s[6:7] offset:1632
	global_load_dword v66, v[28:29], off offset:1624
	v_mul_hi_u32 v2, 0xaaaaaaab, v32
	s_load_dwordx2 s[6:7], s[4:5], 0x38
	s_load_dwordx4 s[8:11], s[2:3], 0x0
	v_cmp_gt_u16_e32 vcc_lo, 34, v7
	v_lshrrev_b32_e32 v2, 1, v2
	v_lshl_add_u32 v2, v2, 1, v2
	v_sub_nc_u32_e32 v2, v32, v2
	v_mul_u32_u24_e32 v2, 0x3fc, v2
	v_lshlrev_b32_e32 v81, 2, v2
	v_add_nc_u32_e32 v65, v8, v81
	v_add_nc_u32_e32 v3, 0x800, v65
	;; [unrolled: 1-line block ×4, first 2 shown]
	s_waitcnt vmcnt(27)
	v_lshrrev_b32_e32 v8, 16, v4
	s_waitcnt vmcnt(25)
	v_mul_f16_sdwa v21, v80, v4 dst_sel:DWORD dst_unused:UNUSED_PAD src0_sel:WORD_1 src1_sel:DWORD
	s_waitcnt vmcnt(23)
	v_lshrrev_b32_e32 v23, 16, v5
	v_mul_f16_sdwa v22, v80, v8 dst_sel:DWORD dst_unused:UNUSED_PAD src0_sel:WORD_1 src1_sel:DWORD
	v_mul_f16_sdwa v24, v79, v5 dst_sel:DWORD dst_unused:UNUSED_PAD src0_sel:WORD_1 src1_sel:DWORD
	v_fma_f16 v8, v80, v8, -v21
	s_waitcnt vmcnt(22)
	v_lshrrev_b32_e32 v21, 16, v6
	v_fmac_f16_e32 v22, v80, v4
	v_mul_f16_sdwa v4, v79, v23 dst_sel:DWORD dst_unused:UNUSED_PAD src0_sel:WORD_1 src1_sel:DWORD
	v_fma_f16 v23, v79, v23, -v24
	v_mul_f16_sdwa v24, v77, v6 dst_sel:DWORD dst_unused:UNUSED_PAD src0_sel:WORD_1 src1_sel:DWORD
	v_pack_b32_f16 v8, v22, v8
	v_fmac_f16_e32 v4, v79, v5
	v_mul_f16_sdwa v5, v77, v21 dst_sel:DWORD dst_unused:UNUSED_PAD src0_sel:WORD_1 src1_sel:DWORD
	s_waitcnt vmcnt(21)
	v_lshrrev_b32_e32 v22, 16, v9
	s_waitcnt vmcnt(20)
	v_mul_f16_sdwa v25, v76, v9 dst_sel:DWORD dst_unused:UNUSED_PAD src0_sel:WORD_1 src1_sel:DWORD
	v_fma_f16 v21, v77, v21, -v24
	v_pack_b32_f16 v4, v4, v23
	v_fmac_f16_e32 v5, v77, v6
	v_mul_f16_sdwa v6, v76, v22 dst_sel:DWORD dst_unused:UNUSED_PAD src0_sel:WORD_1 src1_sel:DWORD
	s_waitcnt vmcnt(19)
	v_lshrrev_b32_e32 v23, 16, v11
	v_fma_f16 v22, v76, v22, -v25
	s_waitcnt vmcnt(18)
	v_mul_f16_sdwa v24, v75, v11 dst_sel:DWORD dst_unused:UNUSED_PAD src0_sel:WORD_1 src1_sel:DWORD
	ds_write_b32 v65, v4 offset:2040
	v_pack_b32_f16 v4, v5, v21
	v_fmac_f16_e32 v6, v76, v9
	v_mul_f16_sdwa v5, v75, v23 dst_sel:DWORD dst_unused:UNUSED_PAD src0_sel:WORD_1 src1_sel:DWORD
	s_waitcnt vmcnt(16)
	v_lshrrev_b32_e32 v21, 16, v12
	v_fma_f16 v9, v75, v23, -v24
	s_waitcnt vmcnt(15)
	v_mul_f16_sdwa v23, v74, v12 dst_sel:DWORD dst_unused:UNUSED_PAD src0_sel:WORD_1 src1_sel:DWORD
	ds_write2_b32 v65, v8, v4 offset1:68
	v_pack_b32_f16 v4, v6, v22
	v_fmac_f16_e32 v5, v75, v11
	v_mul_f16_sdwa v6, v74, v21 dst_sel:DWORD dst_unused:UNUSED_PAD src0_sel:WORD_1 src1_sel:DWORD
	s_waitcnt vmcnt(14)
	v_lshrrev_b32_e32 v8, 16, v13
	v_fma_f16 v11, v74, v21, -v23
	v_mul_f16_sdwa v21, v73, v13 dst_sel:DWORD dst_unused:UNUSED_PAD src0_sel:WORD_1 src1_sel:DWORD
	v_pack_b32_f16 v5, v5, v9
	v_fmac_f16_e32 v6, v74, v12
	v_mul_f16_sdwa v9, v73, v8 dst_sel:DWORD dst_unused:UNUSED_PAD src0_sel:WORD_1 src1_sel:DWORD
	s_waitcnt vmcnt(12)
	v_lshrrev_b32_e32 v12, 16, v14
	v_mul_f16_sdwa v22, v72, v14 dst_sel:DWORD dst_unused:UNUSED_PAD src0_sel:WORD_1 src1_sel:DWORD
	v_fma_f16 v8, v73, v8, -v21
	v_pack_b32_f16 v6, v6, v11
	v_fmac_f16_e32 v9, v73, v13
	v_mul_f16_sdwa v11, v72, v12 dst_sel:DWORD dst_unused:UNUSED_PAD src0_sel:WORD_1 src1_sel:DWORD
	s_waitcnt vmcnt(9)
	v_lshrrev_b32_e32 v13, 16, v15
	v_fma_f16 v12, v72, v12, -v22
	v_mul_f16_sdwa v21, v71, v15 dst_sel:DWORD dst_unused:UNUSED_PAD src0_sel:WORD_1 src1_sel:DWORD
	ds_write2_b32 v3, v4, v6 offset0:66 offset1:134
	v_pack_b32_f16 v4, v9, v8
	v_fmac_f16_e32 v11, v72, v14
	v_mul_f16_sdwa v6, v71, v13 dst_sel:DWORD dst_unused:UNUSED_PAD src0_sel:WORD_1 src1_sel:DWORD
	s_waitcnt vmcnt(7)
	v_lshrrev_b32_e32 v9, 16, v16
	v_fma_f16 v8, v71, v13, -v21
	v_mul_f16_sdwa v13, v70, v16 dst_sel:DWORD dst_unused:UNUSED_PAD src0_sel:WORD_1 src1_sel:DWORD
	ds_write2_b32 v65, v5, v4 offset0:136 offset1:204
	v_pack_b32_f16 v4, v11, v12
	v_fmac_f16_e32 v6, v71, v15
	s_waitcnt vmcnt(6)
	v_lshrrev_b32_e32 v5, 16, v17
	v_mul_f16_sdwa v12, v69, v17 dst_sel:DWORD dst_unused:UNUSED_PAD src0_sel:WORD_1 src1_sel:DWORD
	v_mul_f16_sdwa v11, v70, v9 dst_sel:DWORD dst_unused:UNUSED_PAD src0_sel:WORD_1 src1_sel:DWORD
	v_fma_f16 v9, v70, v9, -v13
	v_pack_b32_f16 v6, v6, v8
	v_mul_f16_sdwa v8, v69, v5 dst_sel:DWORD dst_unused:UNUSED_PAD src0_sel:WORD_1 src1_sel:DWORD
	s_waitcnt vmcnt(5)
	v_lshrrev_b32_e32 v13, 16, v18
	v_fma_f16 v5, v69, v5, -v12
	s_waitcnt vmcnt(4)
	v_mul_f16_sdwa v12, v68, v18 dst_sel:DWORD dst_unused:UNUSED_PAD src0_sel:WORD_1 src1_sel:DWORD
	s_waitcnt vmcnt(3)
	v_lshrrev_b32_e32 v14, 16, v19
	v_fmac_f16_e32 v11, v70, v16
	s_waitcnt vmcnt(2)
	v_lshrrev_b32_e32 v16, 16, v20
	v_fmac_f16_e32 v8, v69, v17
	v_mul_f16_sdwa v15, v68, v13 dst_sel:DWORD dst_unused:UNUSED_PAD src0_sel:WORD_1 src1_sel:DWORD
	v_fma_f16 v12, v68, v13, -v12
	s_waitcnt vmcnt(1)
	v_mul_f16_sdwa v13, v67, v19 dst_sel:DWORD dst_unused:UNUSED_PAD src0_sel:WORD_1 src1_sel:DWORD
	v_mul_f16_sdwa v17, v67, v14 dst_sel:DWORD dst_unused:UNUSED_PAD src0_sel:WORD_1 src1_sel:DWORD
	s_waitcnt vmcnt(0)
	v_mul_f16_sdwa v21, v66, v20 dst_sel:DWORD dst_unused:UNUSED_PAD src0_sel:WORD_1 src1_sel:DWORD
	v_mul_f16_sdwa v22, v66, v16 dst_sel:DWORD dst_unused:UNUSED_PAD src0_sel:WORD_1 src1_sel:DWORD
	v_fmac_f16_e32 v15, v68, v18
	v_fma_f16 v13, v67, v14, -v13
	v_fmac_f16_e32 v17, v67, v19
	v_fma_f16 v14, v66, v16, -v21
	v_fmac_f16_e32 v22, v66, v20
	v_pack_b32_f16 v9, v11, v9
	v_add_nc_u32_e32 v11, 0xc00, v65
	v_pack_b32_f16 v5, v8, v5
	v_pack_b32_f16 v8, v15, v12
	;; [unrolled: 1-line block ×4, first 2 shown]
	ds_write2_b32 v2, v4, v9 offset0:74 offset1:142
	ds_write2_b32 v10, v6, v5 offset0:16 offset1:84
	ds_write_b32 v65, v12 offset:1632
	ds_write2_b32 v11, v8, v13 offset0:82 offset1:150
	s_and_saveexec_b32 s2, vcc_lo
	s_cbranch_execz .LBB0_3
; %bb.2:
	v_add_co_u32 v0, s0, v0, s0
	v_add_co_ci_u32_e64 v1, s0, s1, v1, s0
	v_add_co_u32 v4, s0, v0, s12
	v_add_co_ci_u32_e64 v5, s0, s13, v1, s0
	global_load_dword v0, v[0:1], off
	global_load_dword v1, v[4:5], off
	s_clause 0x1
	global_load_dword v4, v[30:31], off offset:1904
	global_load_dword v5, v[28:29], off offset:1896
	s_waitcnt vmcnt(3)
	v_lshrrev_b32_e32 v6, 16, v0
	s_waitcnt vmcnt(2)
	v_lshrrev_b32_e32 v7, 16, v1
	s_waitcnt vmcnt(1)
	v_mul_f16_sdwa v8, v4, v0 dst_sel:DWORD dst_unused:UNUSED_PAD src0_sel:WORD_1 src1_sel:DWORD
	s_waitcnt vmcnt(0)
	v_mul_f16_sdwa v13, v5, v1 dst_sel:DWORD dst_unused:UNUSED_PAD src0_sel:WORD_1 src1_sel:DWORD
	v_mul_f16_sdwa v9, v4, v6 dst_sel:DWORD dst_unused:UNUSED_PAD src0_sel:WORD_1 src1_sel:DWORD
	;; [unrolled: 1-line block ×3, first 2 shown]
	v_fma_f16 v6, v4, v6, -v8
	v_fmac_f16_e32 v9, v4, v0
	v_fmac_f16_e32 v12, v5, v1
	v_fma_f16 v0, v5, v7, -v13
	v_pack_b32_f16 v1, v9, v6
	v_pack_b32_f16 v0, v12, v0
	ds_write_b32 v65, v1 offset:1904
	ds_write_b32 v65, v0 offset:3944
.LBB0_3:
	s_or_b32 exec_lo, exec_lo, s2
	s_waitcnt lgkmcnt(0)
	s_barrier
	buffer_gl0_inv
	ds_read2_b32 v[6:7], v65 offset1:68
	ds_read2_b32 v[0:1], v10 offset0:152 offset1:254
	ds_read2_b32 v[12:13], v3 offset0:66 offset1:134
	;; [unrolled: 1-line block ×6, first 2 shown]
                                        ; implicit-def: $vgpr14
                                        ; implicit-def: $vgpr15
	s_and_saveexec_b32 s0, vcc_lo
	s_cbranch_execz .LBB0_5
; %bb.4:
	ds_read_b32 v14, v65 offset:1904
	ds_read_b32 v15, v65 offset:3944
.LBB0_5:
	s_or_b32 exec_lo, exec_lo, s0
	s_load_dwordx2 s[2:3], s[4:5], 0x8
	v_add_co_u32 v42, s0, 0x44, v78
	v_add_co_ci_u32_e64 v16, null, 0, 0, s0
	v_add_co_u32 v40, s0, 0x154, v78
	v_add_co_u32 v41, null, 0x88, v78
	v_add_co_u32 v37, null, 0xcc, v78
	;; [unrolled: 1-line block ×3, first 2 shown]
	v_add_co_ci_u32_e64 v16, null, 0, 0, s0
	v_add_co_u32 v43, s0, 0x198, v78
	v_add_co_u32 v39, null, 0x1dc, v78
	s_waitcnt lgkmcnt(0)
	v_pk_add_f16 v17, v6, v1 neg_lo:[0,1] neg_hi:[0,1]
	v_pk_add_f16 v21, v7, v12 neg_lo:[0,1] neg_hi:[0,1]
	;; [unrolled: 1-line block ×8, first 2 shown]
	v_add_co_ci_u32_e64 v16, null, 0, 0, s0
	v_pk_fma_f16 v18, v14, 2.0, v19 op_sel_hi:[1,0,1] neg_lo:[0,0,1] neg_hi:[0,0,1]
	v_lshl_add_u32 v49, v78, 3, v81
	v_pk_fma_f16 v16, v6, 2.0, v17 op_sel_hi:[1,0,1] neg_lo:[0,0,1] neg_hi:[0,0,1]
	v_lshl_add_u32 v51, v42, 3, v81
	;; [unrolled: 2-line block ×8, first 2 shown]
	s_barrier
	buffer_gl0_inv
	ds_write_b64 v49, v[16:17]
	ds_write_b64 v51, v[20:21]
	;; [unrolled: 1-line block ×7, first 2 shown]
	s_and_saveexec_b32 s0, vcc_lo
	s_cbranch_execz .LBB0_7
; %bb.6:
	ds_write_b64 v86, v[18:19]
.LBB0_7:
	s_or_b32 exec_lo, exec_lo, s0
	v_cmp_gt_u16_e64 s0, 60, v78
	v_lshrrev_b32_e32 v44, 16, v16
	v_lshrrev_b32_e32 v57, 16, v20
	v_lshrrev_b32_e32 v96, 16, v22
	v_lshrrev_b32_e32 v99, 16, v35
	v_lshrrev_b32_e32 v98, 16, v33
	v_lshrrev_b32_e32 v100, 16, v26
	v_lshrrev_b32_e32 v97, 16, v24
	s_waitcnt lgkmcnt(0)
	s_barrier
	buffer_gl0_inv
                                        ; implicit-def: $vgpr55
                                        ; implicit-def: $vgpr101
	s_and_saveexec_b32 s1, s0
	s_cbranch_execz .LBB0_9
; %bb.8:
	v_add_nc_u32_e32 v0, 0x200, v65
	v_add_nc_u32_e32 v1, 0x400, v65
	;; [unrolled: 1-line block ×5, first 2 shown]
	ds_read2_b32 v[16:17], v65 offset1:60
	ds_read2_b32 v[20:21], v65 offset0:120 offset1:180
	ds_read2_b32 v[22:23], v0 offset0:112 offset1:172
	;; [unrolled: 1-line block ×6, first 2 shown]
	v_add_nc_u32_e32 v0, 0xc00, v65
	ds_read_b32 v55, v65 offset:3840
	ds_read2_b32 v[18:19], v0 offset0:72 offset1:132
	s_waitcnt lgkmcnt(6)
	v_lshrrev_b32_e32 v96, 16, v22
	s_waitcnt lgkmcnt(5)
	v_lshrrev_b32_e32 v99, 16, v35
	v_lshrrev_b32_e32 v44, 16, v16
	;; [unrolled: 1-line block ×3, first 2 shown]
	s_waitcnt lgkmcnt(4)
	v_lshrrev_b32_e32 v98, 16, v33
	s_waitcnt lgkmcnt(3)
	v_lshrrev_b32_e32 v100, 16, v26
	;; [unrolled: 2-line block ×4, first 2 shown]
.LBB0_9:
	s_or_b32 exec_lo, exec_lo, s1
	v_and_b32_e32 v82, 1, v78
	v_lshrrev_b32_e32 v108, 16, v17
	s_waitcnt lgkmcnt(0)
	v_lshrrev_b32_e32 v110, 16, v19
	v_lshrrev_b32_e32 v102, 16, v21
	;; [unrolled: 1-line block ×3, first 2 shown]
	v_lshlrev_b32_e32 v0, 6, v82
	v_lshrrev_b32_e32 v106, 16, v27
	v_lshrrev_b32_e32 v109, 16, v18
	;; [unrolled: 1-line block ×4, first 2 shown]
	s_clause 0x3
	global_load_dwordx4 v[12:15], v0, s[2:3]
	global_load_dwordx4 v[8:11], v0, s[2:3] offset:16
	global_load_dwordx4 v[4:7], v0, s[2:3] offset:32
	;; [unrolled: 1-line block ×3, first 2 shown]
	v_lshrrev_b32_e32 v104, 16, v36
	s_waitcnt vmcnt(0)
	s_barrier
	buffer_gl0_inv
	v_mul_f16_sdwa v89, v17, v12 dst_sel:DWORD dst_unused:UNUSED_PAD src0_sel:DWORD src1_sel:WORD_1
	v_mul_f16_sdwa v119, v108, v12 dst_sel:DWORD dst_unused:UNUSED_PAD src0_sel:DWORD src1_sel:WORD_1
	;; [unrolled: 1-line block ×9, first 2 shown]
	v_fmac_f16_e32 v89, v108, v12
	v_fmac_f16_e32 v45, v101, v3
	v_fma_f16 v168, v17, v12, -v119
	v_fma_f16 v17, v55, v3, -v122
	v_mul_f16_sdwa v90, v102, v14 dst_sel:DWORD dst_unused:UNUSED_PAD src0_sel:DWORD src1_sel:WORD_1
	v_mul_f16_sdwa v62, v21, v14 dst_sel:DWORD dst_unused:UNUSED_PAD src0_sel:DWORD src1_sel:WORD_1
	;; [unrolled: 1-line block ×8, first 2 shown]
	v_fma_f16 v95, v20, v13, -v64
	v_fmac_f16_e32 v63, v57, v13
	v_fmac_f16_e32 v52, v106, v6
	;; [unrolled: 1-line block ×3, first 2 shown]
	v_fma_f16 v19, v19, v2, -v121
	v_sub_f16_e32 v170, v89, v45
	v_sub_f16_e32 v106, v168, v17
	v_mul_f16_sdwa v91, v96, v15 dst_sel:DWORD dst_unused:UNUSED_PAD src0_sel:DWORD src1_sel:WORD_1
	v_mul_f16_sdwa v61, v22, v15 dst_sel:DWORD dst_unused:UNUSED_PAD src0_sel:DWORD src1_sel:WORD_1
	;; [unrolled: 1-line block ×9, first 2 shown]
	v_fma_f16 v94, v21, v14, -v90
	v_fma_f16 v92, v23, v8, -v92
	;; [unrolled: 1-line block ×3, first 2 shown]
	v_fmac_f16_e32 v62, v102, v14
	v_fmac_f16_e32 v47, v107, v0
	v_fma_f16 v18, v18, v1, -v120
	v_fmac_f16_e32 v46, v109, v1
	v_add_f16_e32 v169, v168, v17
	v_sub_f16_e32 v139, v63, v50
	v_add_f16_e32 v26, v89, v45
	v_sub_f16_e32 v107, v95, v19
	v_mul_f16_e32 v171, 0xb5c8, v170
	v_mul_f16_e32 v127, 0xb5c8, v106
	;; [unrolled: 1-line block ×6, first 2 shown]
	v_mul_f16_sdwa v59, v35, v9 dst_sel:DWORD dst_unused:UNUSED_PAD src0_sel:DWORD src1_sel:WORD_1
	v_mul_f16_sdwa v112, v104, v10 dst_sel:DWORD dst_unused:UNUSED_PAD src0_sel:DWORD src1_sel:WORD_1
	;; [unrolled: 1-line block ×4, first 2 shown]
	v_fma_f16 v93, v22, v15, -v91
	v_fma_f16 v91, v35, v9, -v111
	;; [unrolled: 1-line block ×7, first 2 shown]
	v_fmac_f16_e32 v61, v96, v15
	v_add_f16_e32 v24, v95, v19
	v_add_f16_e32 v25, v63, v50
	v_sub_f16_e32 v155, v62, v46
	v_sub_f16_e32 v114, v94, v18
	v_mul_f16_e32 v116, 0xb964, v139
	v_mul_f16_e32 v123, 0xb964, v107
	;; [unrolled: 1-line block ×6, first 2 shown]
	v_fmamk_f16 v35, v169, 0x3b76, v171
	v_fma_f16 v55, v26, 0x3b76, -v127
	v_fmamk_f16 v109, v169, 0x39e9, v172
	v_fma_f16 v174, v26, 0x39e9, -v146
	v_fmamk_f16 v176, v169, 0x3722, v173
	v_fma_f16 v178, v26, 0x3722, -v162
	v_mul_f16_sdwa v58, v36, v10 dst_sel:DWORD dst_unused:UNUSED_PAD src0_sel:DWORD src1_sel:WORD_1
	v_mul_f16_sdwa v54, v34, v4 dst_sel:DWORD dst_unused:UNUSED_PAD src0_sel:DWORD src1_sel:WORD_1
	v_fma_f16 v90, v36, v10, -v112
	v_fmac_f16_e32 v60, v103, v8
	v_fmac_f16_e32 v48, v97, v7
	v_add_f16_e32 v27, v94, v18
	v_add_f16_e32 v34, v62, v46
	v_sub_f16_e32 v163, v61, v47
	v_sub_f16_e32 v126, v93, v20
	v_mul_f16_e32 v118, 0xbb29, v155
	v_mul_f16_e32 v125, 0xbb29, v114
	;; [unrolled: 1-line block ×6, first 2 shown]
	v_fmamk_f16 v36, v24, 0x39e9, v116
	v_fma_f16 v57, v25, 0x39e9, -v123
	v_fmamk_f16 v110, v24, 0x2de8, v133
	v_fma_f16 v175, v25, 0x2de8, -v144
	;; [unrolled: 2-line block ×3, first 2 shown]
	v_add_f16_e32 v35, v16, v35
	v_add_f16_e32 v55, v44, v55
	v_add_f16_e32 v109, v16, v109
	v_add_f16_e32 v174, v44, v174
	v_add_f16_e32 v176, v16, v176
	v_add_f16_e32 v178, v44, v178
	v_fmac_f16_e32 v59, v99, v9
	v_add_f16_e32 v96, v93, v20
	v_add_f16_e32 v97, v61, v47
	v_sub_f16_e32 v164, v60, v48
	v_sub_f16_e32 v128, v92, v21
	v_mul_f16_e32 v117, 0xbbf7, v163
	v_mul_f16_e32 v124, 0xbbf7, v126
	;; [unrolled: 1-line block ×6, first 2 shown]
	v_fmamk_f16 v180, v27, 0x3722, v118
	v_fma_f16 v181, v34, 0x3722, -v125
	v_fmamk_f16 v182, v27, 0xb8d2, v134
	v_fma_f16 v183, v34, 0xb8d2, -v142
	;; [unrolled: 2-line block ×3, first 2 shown]
	v_add_f16_e32 v35, v36, v35
	v_add_f16_e32 v36, v57, v55
	;; [unrolled: 1-line block ×6, first 2 shown]
	v_fmac_f16_e32 v58, v104, v10
	v_fmac_f16_e32 v56, v98, v11
	;; [unrolled: 1-line block ×3, first 2 shown]
	v_add_f16_e32 v98, v92, v21
	v_add_f16_e32 v99, v60, v48
	v_sub_f16_e32 v165, v59, v52
	v_sub_f16_e32 v135, v91, v22
	v_mul_f16_e32 v115, 0xbbb2, v164
	v_mul_f16_e32 v122, 0xbbb2, v128
	;; [unrolled: 1-line block ×6, first 2 shown]
	v_fmamk_f16 v186, v96, 0x2de8, v117
	v_fma_f16 v187, v97, 0x2de8, -v124
	v_fmamk_f16 v188, v96, 0xbbdd, v131
	v_fma_f16 v189, v97, 0xbbdd, -v141
	;; [unrolled: 2-line block ×3, first 2 shown]
	v_add_f16_e32 v35, v180, v35
	v_add_f16_e32 v36, v181, v36
	;; [unrolled: 1-line block ×6, first 2 shown]
	v_fmac_f16_e32 v54, v105, v4
	v_add_f16_e32 v100, v91, v22
	v_add_f16_e32 v102, v59, v52
	v_sub_f16_e32 v166, v58, v53
	v_sub_f16_e32 v143, v90, v23
	v_mul_f16_e32 v113, 0xba62, v165
	v_mul_f16_e32 v121, 0xba62, v135
	;; [unrolled: 1-line block ×6, first 2 shown]
	v_fmamk_f16 v192, v98, 0xb461, v115
	v_fma_f16 v193, v99, 0xb461, -v122
	v_fmamk_f16 v194, v98, 0xbacd, v132
	v_fma_f16 v195, v99, 0xbacd, -v140
	;; [unrolled: 2-line block ×3, first 2 shown]
	v_add_f16_e32 v35, v186, v35
	v_add_f16_e32 v36, v187, v36
	;; [unrolled: 1-line block ×8, first 2 shown]
	v_sub_f16_e32 v167, v56, v54
	v_sub_f16_e32 v153, v64, v33
	v_mul_f16_e32 v111, 0xb836, v166
	v_mul_f16_e32 v120, 0xb836, v143
	;; [unrolled: 1-line block ×6, first 2 shown]
	v_fmamk_f16 v198, v100, 0xb8d2, v113
	v_fma_f16 v199, v102, 0xb8d2, -v121
	v_fmamk_f16 v200, v100, 0xb461, v130
	v_fma_f16 v201, v102, 0xb461, -v138
	;; [unrolled: 2-line block ×3, first 2 shown]
	v_add_f16_e32 v35, v192, v35
	v_add_f16_e32 v36, v193, v36
	;; [unrolled: 1-line block ×8, first 2 shown]
	v_mul_f16_e32 v108, 0xb1e1, v167
	v_mul_f16_e32 v112, 0xb1e1, v153
	;; [unrolled: 1-line block ×6, first 2 shown]
	v_fmamk_f16 v204, v101, 0xbacd, v111
	v_fma_f16 v205, v103, 0xbacd, -v120
	v_fmamk_f16 v206, v101, 0x3722, v129
	v_fma_f16 v207, v103, 0x3722, -v136
	;; [unrolled: 2-line block ×3, first 2 shown]
	v_add_f16_e32 v35, v198, v35
	v_add_f16_e32 v36, v199, v36
	;; [unrolled: 1-line block ×6, first 2 shown]
	v_fmamk_f16 v210, v104, 0xbbdd, v108
	v_fma_f16 v211, v105, 0xbbdd, -v112
	v_fmamk_f16 v212, v104, 0x3b76, v119
	v_fma_f16 v213, v105, 0x3b76, -v137
	;; [unrolled: 2-line block ×3, first 2 shown]
	v_add_f16_e32 v35, v204, v35
	v_add_f16_e32 v36, v205, v36
	;; [unrolled: 1-line block ×12, first 2 shown]
	s_and_saveexec_b32 s1, s0
	s_cbranch_execz .LBB0_11
; %bb.10:
	v_mul_f16_e32 v174, 0x3722, v169
	v_mul_f16_e32 v175, 0xbbf7, v170
	;; [unrolled: 1-line block ×4, first 2 shown]
	v_add_f16_e32 v168, v16, v168
	v_sub_f16_e32 v173, v174, v173
	v_mul_f16_e32 v174, 0x39e9, v169
	v_fmamk_f16 v179, v169, 0xbacd, v176
	v_fma_f16 v176, v169, 0xbacd, -v176
	v_fmamk_f16 v181, v169, 0xb461, v177
	v_fma_f16 v177, v169, 0xb461, -v177
	v_sub_f16_e32 v172, v174, v172
	v_mul_f16_e32 v174, 0xb1e1, v170
	v_mul_f16_e32 v170, 0xba62, v170
	v_fmamk_f16 v182, v169, 0x2de8, v175
	v_fma_f16 v175, v169, 0x2de8, -v175
	v_add_f16_e32 v181, v16, v181
	v_fmamk_f16 v178, v169, 0xbbdd, v174
	v_fma_f16 v174, v169, 0xbbdd, -v174
	v_fmamk_f16 v180, v169, 0xb8d2, v170
	v_fma_f16 v170, v169, 0xb8d2, -v170
	v_mul_f16_e32 v169, 0x3b76, v169
	v_add_f16_e32 v179, v16, v179
	v_add_f16_e32 v178, v16, v178
	v_add_f16_e32 v180, v16, v180
	v_add_f16_e32 v174, v16, v174
	v_sub_f16_e32 v169, v169, v171
	v_add_f16_e32 v171, v16, v182
	v_mul_f16_e32 v182, 0x2de8, v26
	v_add_f16_e32 v176, v16, v176
	v_add_f16_e32 v170, v16, v170
	;; [unrolled: 1-line block ×7, first 2 shown]
	v_fmamk_f16 v16, v106, 0x3bf7, v182
	v_mul_f16_e32 v183, 0xbbdd, v25
	v_mul_f16_e32 v194, 0xbacd, v25
	;; [unrolled: 1-line block ×4, first 2 shown]
	v_add_f16_e32 v16, v44, v16
	v_fmamk_f16 v184, v107, 0x31e1, v183
	v_fmamk_f16 v195, v107, 0xb836, v194
	;; [unrolled: 1-line block ×4, first 2 shown]
	v_mul_f16_e32 v247, 0x3b76, v25
	v_add_f16_e32 v16, v184, v16
	v_mul_f16_e32 v184, 0xb461, v34
	v_add_f16_e32 v95, v168, v95
	v_add_f16_e32 v89, v44, v89
	v_fmamk_f16 v248, v107, 0xb5c8, v247
	v_fmac_f16_e32 v182, 0xbbf7, v106
	v_fmamk_f16 v185, v114, 0xbbb2, v184
	v_fmac_f16_e32 v184, 0x3bb2, v114
	v_add_f16_e32 v63, v89, v63
	v_add_f16_e32 v94, v95, v94
	v_fmac_f16_e32 v247, 0x35c8, v107
	v_add_f16_e32 v16, v185, v16
	v_mul_f16_e32 v185, 0x3b76, v97
	v_add_f16_e32 v62, v63, v62
	v_add_f16_e32 v63, v94, v93
	v_fmac_f16_e32 v226, 0x3b29, v107
	v_fmac_f16_e32 v210, 0x3bb2, v107
	v_fmamk_f16 v186, v126, 0xb5c8, v185
	v_fmac_f16_e32 v185, 0x35c8, v126
	v_fmac_f16_e32 v194, 0x3836, v107
	;; [unrolled: 1-line block ×3, first 2 shown]
	v_add_f16_e32 v107, v44, v182
	v_add_f16_e32 v16, v186, v16
	v_mul_f16_e32 v186, 0x3722, v99
	v_add_f16_e32 v61, v62, v61
	v_mul_f16_e32 v95, 0xb461, v100
	;; [unrolled: 2-line block ×3, first 2 shown]
	v_fmamk_f16 v187, v128, 0x3b29, v186
	v_fmac_f16_e32 v186, 0xbb29, v128
	v_add_f16_e32 v60, v61, v60
	v_add_f16_e32 v107, v184, v107
	v_sub_f16_e32 v95, v95, v130
	v_add_f16_e32 v16, v187, v16
	v_mul_f16_e32 v187, 0xb1e1, v139
	v_mul_f16_e32 v89, 0x3b76, v105
	v_add_f16_e32 v107, v185, v107
	v_sub_f16_e32 v62, v62, v129
	v_fmamk_f16 v188, v24, 0xbbdd, v187
	v_add_f16_e32 v89, v137, v89
	v_add_f16_e32 v107, v186, v107
	;; [unrolled: 1-line block ×3, first 2 shown]
	v_mul_f16_e32 v188, 0xbacd, v102
	v_fmamk_f16 v189, v135, 0x3836, v188
	v_fmac_f16_e32 v188, 0xb836, v135
	v_add_f16_e32 v16, v189, v16
	v_mul_f16_e32 v189, 0x3bb2, v155
	v_add_f16_e32 v107, v188, v107
	v_fmamk_f16 v190, v27, 0xb461, v189
	v_add_f16_e32 v171, v190, v171
	v_mul_f16_e32 v190, 0xb8d2, v103
	v_fmamk_f16 v191, v143, 0xba62, v190
	v_fmac_f16_e32 v190, 0x3a62, v143
	v_add_f16_e32 v16, v191, v16
	v_mul_f16_e32 v191, 0x35c8, v163
	v_add_f16_e32 v107, v190, v107
	v_fmamk_f16 v192, v96, 0x3b76, v191
	v_add_f16_e32 v171, v192, v171
	v_mul_f16_e32 v192, 0xb461, v26
	v_fmamk_f16 v193, v106, 0x3bb2, v192
	v_fmac_f16_e32 v192, 0xbbb2, v106
	v_add_f16_e32 v193, v44, v193
	v_add_f16_e32 v193, v195, v193
	v_mul_f16_e32 v195, 0xbb29, v164
	v_fmamk_f16 v196, v98, 0x3722, v195
	v_add_f16_e32 v171, v196, v171
	v_mul_f16_e32 v196, 0x39e9, v34
	v_fmamk_f16 v197, v114, 0xb964, v196
	v_fmac_f16_e32 v196, 0x3964, v114
	v_add_f16_e32 v193, v197, v193
	v_mul_f16_e32 v197, 0xb836, v165
	v_fmamk_f16 v198, v100, 0xbacd, v197
	v_add_f16_e32 v171, v198, v171
	v_mul_f16_e32 v198, 0x39e9, v105
	v_fmamk_f16 v199, v153, 0xb964, v198
	v_fmac_f16_e32 v198, 0x3964, v153
	v_add_f16_e32 v16, v199, v16
	v_mul_f16_e32 v199, 0x3722, v97
	v_add_f16_e32 v107, v198, v107
	v_fmamk_f16 v200, v126, 0x3b29, v199
	v_fmac_f16_e32 v199, 0xbb29, v126
	v_add_f16_e32 v193, v200, v193
	v_mul_f16_e32 v200, 0x3a62, v166
	v_fmamk_f16 v201, v101, 0xb8d2, v200
	v_add_f16_e32 v171, v201, v171
	v_mul_f16_e32 v201, 0xbbdd, v99
	v_fmamk_f16 v202, v128, 0x31e1, v201
	v_fmac_f16_e32 v201, 0xb1e1, v128
	v_add_f16_e32 v193, v202, v193
	v_mul_f16_e32 v202, 0x2de8, v102
	v_fmamk_f16 v203, v135, 0xbbf7, v202
	v_fmac_f16_e32 v202, 0x3bf7, v135
	v_add_f16_e32 v193, v203, v193
	v_mul_f16_e32 v203, 0x3964, v167
	v_fmamk_f16 v204, v104, 0x39e9, v203
	v_add_f16_e32 v171, v204, v171
	v_mul_f16_e32 v204, 0x3b76, v103
	v_pack_b32_f16 v16, v171, v16
	v_fmamk_f16 v205, v143, 0x35c8, v204
	v_fmac_f16_e32 v204, 0xb5c8, v143
	v_add_f16_e32 v193, v205, v193
	v_mul_f16_e32 v205, 0x3836, v139
	v_fmamk_f16 v206, v24, 0xbacd, v205
	v_add_f16_e32 v181, v206, v181
	v_mul_f16_e32 v206, 0x3964, v155
	v_fmamk_f16 v207, v27, 0x39e9, v206
	;; [unrolled: 3-line block ×4, first 2 shown]
	v_fmac_f16_e32 v208, 0xba62, v106
	v_add_f16_e32 v209, v44, v209
	v_add_f16_e32 v209, v211, v209
	v_mul_f16_e32 v211, 0xb1e1, v164
	v_fmamk_f16 v212, v98, 0xbbdd, v211
	v_add_f16_e32 v181, v212, v181
	v_mul_f16_e32 v212, 0x3b76, v34
	v_fmamk_f16 v213, v114, 0x35c8, v212
	v_fmac_f16_e32 v212, 0xb5c8, v114
	v_add_f16_e32 v209, v213, v209
	v_mul_f16_e32 v213, 0x3bf7, v165
	v_fmamk_f16 v214, v100, 0x2de8, v213
	v_add_f16_e32 v181, v214, v181
	v_mul_f16_e32 v214, 0xb8d2, v105
	v_fmamk_f16 v215, v153, 0x3a62, v214
	v_fmac_f16_e32 v214, 0xba62, v153
	v_add_f16_e32 v193, v215, v193
	v_mul_f16_e32 v215, 0xbacd, v97
	v_fmamk_f16 v216, v126, 0x3836, v215
	v_fmac_f16_e32 v215, 0xb836, v126
	v_add_f16_e32 v209, v216, v209
	v_mul_f16_e32 v216, 0xb5c8, v166
	v_fmamk_f16 v217, v101, 0x3b76, v216
	v_add_f16_e32 v181, v217, v181
	v_mul_f16_e32 v217, 0x2de8, v99
	v_fmamk_f16 v218, v128, 0xbbf7, v217
	v_fmac_f16_e32 v217, 0x3bf7, v128
	;; [unrolled: 11-line block ×3, first 2 shown]
	v_add_f16_e32 v209, v221, v209
	v_mul_f16_e32 v221, 0x3bb2, v139
	v_fmamk_f16 v222, v24, 0xb461, v221
	v_add_f16_e32 v180, v222, v180
	v_mul_f16_e32 v222, 0xb5c8, v155
	v_fmamk_f16 v223, v27, 0x3b76, v222
	;; [unrolled: 3-line block ×4, first 2 shown]
	v_fmac_f16_e32 v224, 0xb836, v106
	v_add_f16_e32 v225, v44, v225
	v_add_f16_e32 v225, v227, v225
	v_mul_f16_e32 v227, 0x3bf7, v164
	v_fmamk_f16 v228, v98, 0x2de8, v227
	v_add_f16_e32 v180, v228, v180
	v_mul_f16_e32 v228, 0x2de8, v34
	v_fmamk_f16 v229, v114, 0x3bf7, v228
	v_fmac_f16_e32 v228, 0xbbf7, v114
	v_add_f16_e32 v225, v229, v225
	v_mul_f16_e32 v229, 0xb964, v165
	v_fmamk_f16 v230, v100, 0x39e9, v229
	v_add_f16_e32 v180, v230, v180
	v_mul_f16_e32 v230, 0xb8d2, v97
	v_fmamk_f16 v231, v126, 0xba62, v230
	v_fmac_f16_e32 v230, 0x3a62, v126
	v_add_f16_e32 v225, v231, v225
	v_mul_f16_e32 v231, 0x3722, v105
	v_fmamk_f16 v232, v153, 0xbb29, v231
	v_fmac_f16_e32 v231, 0x3b29, v153
	v_add_f16_e32 v209, v232, v209
	v_mul_f16_e32 v232, 0xb1e1, v166
	v_fmamk_f16 v233, v101, 0xbbdd, v232
	v_add_f16_e32 v180, v233, v180
	v_mul_f16_e32 v233, 0x3b76, v99
	v_fmamk_f16 v234, v128, 0x35c8, v233
	v_fmac_f16_e32 v233, 0xb5c8, v128
	v_add_f16_e32 v225, v234, v225
	v_mul_f16_e32 v234, 0x3b29, v167
	v_fmamk_f16 v235, v104, 0x3722, v234
	;; [unrolled: 7-line block ×3, first 2 shown]
	v_fmac_f16_e32 v236, 0x3964, v143
	v_add_f16_e32 v225, v237, v225
	v_mul_f16_e32 v237, 0xb461, v105
	v_fmamk_f16 v238, v153, 0x3bb2, v237
	v_fmac_f16_e32 v237, 0xbbb2, v153
	v_add_f16_e32 v225, v238, v225
	v_mul_f16_e32 v238, 0x3b29, v139
	v_mul_f16_e32 v139, 0x35c8, v139
	v_fmamk_f16 v239, v24, 0x3722, v238
	v_add_f16_e32 v179, v239, v179
	v_mul_f16_e32 v239, 0xbbf7, v155
	v_mul_f16_e32 v155, 0xb836, v155
	v_fmamk_f16 v240, v27, 0x2de8, v239
	;; [unrolled: 4-line block ×7, first 2 shown]
	v_add_f16_e32 v179, v245, v179
	v_mul_f16_e32 v245, 0xbbdd, v26
	v_fmamk_f16 v246, v106, 0x31e1, v245
	v_fmac_f16_e32 v245, 0xb1e1, v106
	v_add_f16_e32 v246, v44, v246
	v_add_f16_e32 v245, v44, v245
	;; [unrolled: 1-line block ×3, first 2 shown]
	v_mul_f16_e32 v248, 0xbacd, v34
	v_add_f16_e32 v245, v247, v245
	v_fmamk_f16 v249, v114, 0x3836, v248
	v_fmac_f16_e32 v248, 0xb836, v114
	v_fma_f16 v114, v100, 0x2de8, -v213
	v_add_f16_e32 v246, v249, v246
	v_mul_f16_e32 v249, 0x39e9, v97
	v_add_f16_e32 v245, v248, v245
	v_fmamk_f16 v250, v126, 0xb964, v249
	v_fmac_f16_e32 v249, 0x3964, v126
	v_fma_f16 v126, v101, 0x3b76, -v216
	v_add_f16_e32 v246, v250, v246
	;; [unrolled: 6-line block ×3, first 2 shown]
	v_mul_f16_e32 v251, 0x3722, v102
	v_add_f16_e32 v245, v250, v245
	v_fmamk_f16 v252, v135, 0xbb29, v251
	v_fmac_f16_e32 v251, 0x3b29, v135
	v_mul_f16_e32 v135, 0xb8d2, v25
	v_add_f16_e32 v246, v252, v246
	v_mul_f16_e32 v252, 0xb461, v103
	v_add_f16_e32 v135, v160, v135
	v_fma_f16 v160, v96, 0x3b76, -v191
	v_add_f16_e32 v245, v251, v245
	v_fmamk_f16 v253, v143, 0x3bb2, v252
	v_fmac_f16_e32 v252, 0xbbb2, v143
	v_fma_f16 v143, v98, 0x3722, -v195
	v_add_f16_e32 v246, v253, v246
	v_mul_f16_e32 v253, 0x2de8, v105
	v_add_f16_e32 v245, v252, v245
	v_fmamk_f16 v254, v153, 0xbbf7, v253
	v_fmac_f16_e32 v253, 0x3bf7, v153
	v_add_f16_e32 v246, v254, v246
	v_fmamk_f16 v254, v24, 0x3b76, v139
	v_fma_f16 v139, v24, 0x3b76, -v139
	v_add_f16_e32 v245, v253, v245
	v_add_f16_e32 v178, v254, v178
	v_fmamk_f16 v254, v27, 0xbacd, v155
	v_add_f16_e32 v139, v139, v174
	v_fma_f16 v155, v27, 0xbacd, -v155
	v_fma_f16 v174, v27, 0x39e9, -v206
	v_add_f16_e32 v178, v254, v178
	v_fmamk_f16 v254, v96, 0x39e9, v163
	v_add_f16_e32 v139, v155, v139
	v_fma_f16 v155, v96, 0x39e9, -v163
	v_fma_f16 v163, v24, 0x3722, -v238
	v_add_f16_e32 v178, v254, v178
	v_fmamk_f16 v254, v98, 0xb8d2, v164
	v_add_f16_e32 v139, v155, v139
	v_fma_f16 v155, v98, 0xb8d2, -v164
	v_add_f16_e32 v163, v163, v176
	v_fma_f16 v164, v27, 0x2de8, -v239
	v_add_f16_e32 v178, v254, v178
	v_fmamk_f16 v254, v100, 0x3722, v165
	v_add_f16_e32 v139, v155, v139
	v_fma_f16 v155, v100, 0x3722, -v165
	v_add_f16_e32 v163, v164, v163
	v_fma_f16 v164, v96, 0xb8d2, -v240
	v_fma_f16 v165, v101, 0x39e9, -v243
	v_add_f16_e32 v178, v254, v178
	v_fmamk_f16 v254, v101, 0xb461, v166
	v_add_f16_e32 v139, v155, v139
	v_add_f16_e32 v163, v164, v163
	v_fma_f16 v164, v98, 0x3b76, -v241
	v_fma_f16 v155, v101, 0xb461, -v166
	;; [unrolled: 1-line block ×3, first 2 shown]
	v_add_f16_e32 v178, v254, v178
	v_fmamk_f16 v254, v104, 0x2de8, v167
	v_add_f16_e32 v163, v164, v163
	v_fma_f16 v164, v100, 0xbbdd, -v242
	v_add_f16_e32 v139, v155, v139
	v_add_f16_e32 v155, v44, v224
	;; [unrolled: 1-line block ×7, first 2 shown]
	v_fma_f16 v165, v104, 0xb461, -v244
	v_add_f16_e32 v164, v210, v164
	v_add_f16_e32 v155, v228, v155
	v_add_f16_e32 v163, v165, v163
	v_fma_f16 v165, v24, 0xb461, -v221
	v_add_f16_e32 v164, v212, v164
	v_add_f16_e32 v155, v230, v155
	v_add_f16_e32 v165, v165, v170
	;; [unrolled: 4-line block ×5, first 2 shown]
	v_add_f16_e32 v166, v44, v192
	v_add_f16_e32 v164, v220, v164
	;; [unrolled: 1-line block ×4, first 2 shown]
	v_fma_f16 v170, v101, 0xbbdd, -v232
	v_add_f16_e32 v166, v194, v166
	v_add_f16_e32 v164, v231, v164
	v_add_f16_e32 v165, v170, v165
	v_fma_f16 v170, v24, 0xbacd, -v205
	v_add_f16_e32 v166, v196, v166
	v_add_f16_e32 v170, v170, v177
	;; [unrolled: 1-line block ×4, first 2 shown]
	v_fma_f16 v174, v96, 0x3722, -v207
	v_add_f16_e32 v166, v201, v166
	v_add_f16_e32 v170, v174, v170
	v_fma_f16 v174, v104, 0x3722, -v234
	v_add_f16_e32 v166, v202, v166
	v_add_f16_e32 v165, v174, v165
	;; [unrolled: 3-line block ×3, first 2 shown]
	v_add_f16_e32 v106, v214, v166
	v_add_f16_e32 v114, v114, v170
	;; [unrolled: 1-line block ×3, first 2 shown]
	v_fma_f16 v126, v24, 0xbbdd, -v187
	v_add_f16_e32 v114, v128, v114
	v_mul_f16_e32 v128, 0x3722, v26
	v_add_f16_e32 v126, v126, v175
	v_add_f16_e32 v128, v162, v128
	v_fma_f16 v162, v27, 0xb461, -v189
	v_add_f16_e32 v128, v44, v128
	v_add_f16_e32 v126, v162, v126
	;; [unrolled: 1-line block ×3, first 2 shown]
	v_mul_f16_e32 v135, 0xbbdd, v34
	v_add_f16_e32 v126, v160, v126
	v_add_f16_e32 v135, v159, v135
	;; [unrolled: 1-line block ×3, first 2 shown]
	v_fma_f16 v143, v100, 0xbacd, -v197
	v_add_f16_e32 v128, v135, v128
	v_mul_f16_e32 v135, 0xb461, v97
	v_add_f16_e32 v126, v143, v126
	v_fma_f16 v143, v101, 0xb8d2, -v200
	v_add_f16_e32 v135, v157, v135
	v_add_f16_e32 v126, v143, v126
	v_mul_f16_e32 v143, 0xb8d2, v24
	v_add_f16_e32 v128, v135, v128
	v_mul_f16_e32 v135, 0x39e9, v99
	v_sub_f16_e32 v143, v143, v152
	v_fma_f16 v152, v104, 0x39e9, -v203
	v_add_f16_e32 v135, v158, v135
	v_add_f16_e32 v143, v143, v173
	;; [unrolled: 1-line block ×3, first 2 shown]
	v_mul_f16_e32 v152, 0x39e9, v26
	v_add_f16_e32 v128, v135, v128
	v_mul_f16_e32 v135, 0x3b76, v102
	v_mul_f16_e32 v26, 0x3b76, v26
	v_add_f16_e32 v146, v146, v152
	v_mul_f16_e32 v152, 0xbbdd, v27
	v_add_f16_e32 v135, v156, v135
	v_add_f16_e32 v26, v127, v26
	;; [unrolled: 1-line block ×3, first 2 shown]
	v_sub_f16_e32 v151, v152, v151
	v_add_f16_e32 v128, v135, v128
	v_mul_f16_e32 v135, 0x2de8, v103
	v_mul_f16_e32 v152, 0x2de8, v25
	v_add_f16_e32 v26, v44, v26
	v_add_f16_e32 v143, v151, v143
	v_mul_f16_e32 v151, 0xb461, v96
	v_add_f16_e32 v135, v154, v135
	v_add_f16_e32 v144, v144, v152
	;; [unrolled: 1-line block ×3, first 2 shown]
	v_mul_f16_e32 v25, 0x39e9, v25
	v_sub_f16_e32 v150, v151, v150
	v_add_f16_e32 v128, v135, v128
	v_mul_f16_e32 v135, 0xbacd, v105
	v_add_f16_e32 v144, v144, v146
	v_mul_f16_e32 v146, 0xb8d2, v34
	v_add_f16_e32 v143, v150, v143
	v_add_f16_e32 v25, v123, v25
	;; [unrolled: 1-line block ×5, first 2 shown]
	v_mul_f16_e32 v146, 0x39e9, v98
	v_mul_f16_e32 v34, 0x3722, v34
	v_add_f16_e32 v128, v135, v128
	v_add_f16_e32 v25, v25, v26
	;; [unrolled: 1-line block ×3, first 2 shown]
	v_sub_f16_e32 v146, v146, v148
	v_mul_f16_e32 v142, 0xbbdd, v97
	v_mul_f16_e32 v144, 0x2de8, v24
	v_add_f16_e32 v26, v60, v59
	v_add_f16_e32 v34, v125, v34
	;; [unrolled: 1-line block ×5, first 2 shown]
	v_mul_f16_e32 v143, 0x3b76, v100
	v_mul_f16_e32 v24, 0x39e9, v24
	v_add_f16_e32 v26, v26, v58
	v_add_f16_e32 v135, v141, v135
	v_mul_f16_e32 v141, 0xbacd, v99
	v_sub_f16_e32 v143, v143, v147
	v_sub_f16_e32 v24, v24, v116
	v_add_f16_e32 v25, v34, v25
	v_mul_f16_e32 v34, 0x2de8, v97
	v_add_f16_e32 v140, v140, v141
	v_add_f16_e32 v141, v143, v142
	v_mul_f16_e32 v143, 0xb8d2, v27
	v_add_f16_e32 v44, v44, v64
	v_mul_f16_e32 v27, 0x3722, v27
	v_sub_f16_e32 v133, v144, v133
	v_add_f16_e32 v34, v124, v34
	v_add_f16_e32 v24, v24, v169
	;; [unrolled: 1-line block ×3, first 2 shown]
	v_sub_f16_e32 v27, v27, v118
	v_add_f16_e32 v33, v44, v33
	v_add_f16_e32 v133, v133, v172
	v_sub_f16_e32 v134, v143, v134
	v_add_f16_e32 v25, v34, v25
	v_mul_f16_e32 v34, 0xb461, v99
	v_add_f16_e32 v26, v26, v54
	v_add_f16_e32 v24, v27, v24
	v_mul_f16_e32 v27, 0x2de8, v96
	v_add_f16_e32 v23, v33, v23
	v_add_f16_e32 v133, v134, v133
	v_mul_f16_e32 v134, 0xbbdd, v96
	v_add_f16_e32 v34, v122, v34
	v_sub_f16_e32 v27, v27, v117
	v_add_f16_e32 v26, v26, v53
	v_mul_f16_e32 v33, 0xb8d2, v102
	v_add_f16_e32 v22, v23, v22
	v_mul_f16_e32 v23, 0xb461, v98
	v_sub_f16_e32 v131, v134, v131
	v_add_f16_e32 v25, v34, v25
	v_add_f16_e32 v33, v121, v33
	;; [unrolled: 1-line block ×3, first 2 shown]
	v_sub_f16_e32 v23, v23, v115
	v_add_f16_e32 v26, v26, v52
	v_mul_f16_e32 v27, 0xbacd, v103
	v_add_f16_e32 v135, v140, v135
	v_mul_f16_e32 v140, 0xb461, v102
	;; [unrolled: 2-line block ×3, first 2 shown]
	v_add_f16_e32 v25, v33, v25
	v_add_f16_e32 v27, v120, v27
	;; [unrolled: 1-line block ×3, first 2 shown]
	v_mul_f16_e32 v22, 0xb8d2, v100
	v_add_f16_e32 v23, v23, v24
	v_add_f16_e32 v24, v26, v48
	v_mul_f16_e32 v142, 0x2de8, v101
	v_add_f16_e32 v138, v138, v140
	v_sub_f16_e32 v132, v133, v132
	v_mul_f16_e32 v33, 0x3b76, v104
	v_sub_f16_e32 v22, v22, v113
	v_add_f16_e32 v20, v21, v20
	v_add_f16_e32 v21, v27, v25
	;; [unrolled: 1-line block ×3, first 2 shown]
	v_mul_f16_e32 v25, 0xbacd, v101
	v_sub_f16_e32 v142, v142, v145
	v_add_f16_e32 v134, v138, v135
	v_mul_f16_e32 v135, 0x3722, v103
	v_add_f16_e32 v131, v132, v131
	v_sub_f16_e32 v26, v33, v119
	v_mul_f16_e32 v33, 0xbbdd, v104
	v_mul_f16_e32 v34, 0xbbdd, v105
	v_add_f16_e32 v22, v22, v23
	v_sub_f16_e32 v23, v25, v111
	v_add_f16_e32 v18, v20, v18
	v_lshrrev_b32_e32 v20, 1, v78
	v_add_f16_e32 v24, v24, v46
	v_add_f16_e32 v140, v142, v141
	v_mul_f16_e32 v141, 0xbacd, v104
	v_add_f16_e32 v135, v136, v135
	v_add_f16_e32 v93, v95, v131
	v_add_f16_e32 v25, v112, v34
	v_add_f16_e32 v22, v23, v22
	v_add_f16_e32 v18, v18, v19
	v_mul_u32_u24_e32 v19, 34, v20
	v_add_f16_e32 v20, v24, v50
	v_sub_f16_e32 v23, v33, v108
	v_sub_f16_e32 v141, v141, v149
	v_add_f16_e32 v133, v135, v134
	v_add_f16_e32 v62, v62, v93
	v_fma_f16 v27, v104, 0x2de8, -v167
	v_add_f16_e32 v21, v25, v21
	v_add_f16_e32 v17, v18, v17
	v_or_b32_e32 v18, v19, v82
	v_add_f16_e32 v19, v20, v45
	v_add_f16_e32 v20, v23, v22
	;; [unrolled: 1-line block ×5, first 2 shown]
	v_lshl_add_u32 v18, v18, 2, v81
	v_pack_b32_f16 v17, v17, v19
	v_pack_b32_f16 v19, v20, v21
	v_add_f16_e32 v26, v27, v139
	v_pack_b32_f16 v20, v22, v61
	v_pack_b32_f16 v21, v23, v128
	;; [unrolled: 1-line block ×6, first 2 shown]
	ds_write2_b32 v18, v17, v19 offset1:2
	ds_write2_b32 v18, v20, v21 offset0:4 offset1:6
	ds_write2_b32 v18, v22, v23 offset0:8 offset1:10
	;; [unrolled: 1-line block ×3, first 2 shown]
	v_pack_b32_f16 v17, v26, v245
	v_pack_b32_f16 v19, v178, v246
	;; [unrolled: 1-line block ×5, first 2 shown]
	v_perm_b32 v23, v36, v35, 0x5040100
	v_perm_b32 v24, v57, v55, 0x5040100
	;; [unrolled: 1-line block ×3, first 2 shown]
	ds_write2_b32 v18, v17, v19 offset0:16 offset1:18
	ds_write2_b32 v18, v20, v21 offset0:20 offset1:22
	;; [unrolled: 1-line block ×4, first 2 shown]
	ds_write_b32 v18, v25 offset:128
.LBB0_11:
	s_or_b32 exec_lo, exec_lo, s1
	v_add_nc_u32_e32 v20, 0x400, v65
	v_add_nc_u32_e32 v21, 0x800, v65
	;; [unrolled: 1-line block ×4, first 2 shown]
	s_waitcnt lgkmcnt(0)
	s_barrier
	buffer_gl0_inv
	ds_read2_b32 v[18:19], v65 offset1:68
	ds_read2_b32 v[16:17], v20 offset0:152 offset1:254
	ds_read2_b32 v[33:34], v21 offset0:66 offset1:134
	ds_read2_b32 v[22:23], v65 offset0:136 offset1:204
	ds_read2_b32 v[26:27], v24 offset0:74 offset1:142
	ds_read2_b32 v[20:21], v20 offset0:16 offset1:84
	ds_read2_b32 v[24:25], v25 offset0:82 offset1:150
	v_lshlrev_b32_e32 v44, 1, v78
	s_and_saveexec_b32 s1, vcc_lo
	s_cbranch_execz .LBB0_13
; %bb.12:
	ds_read_b32 v35, v65 offset:1904
	ds_read_b32 v55, v65 offset:3944
	s_waitcnt lgkmcnt(1)
	v_lshrrev_b32_e32 v36, 16, v35
	s_waitcnt lgkmcnt(0)
	v_lshrrev_b32_e32 v57, 16, v55
.LBB0_13:
	s_or_b32 exec_lo, exec_lo, s1
	v_add_co_u32 v47, s1, 0xffffffde, v78
	v_and_b32_e32 v45, 0xff, v42
	v_add_co_ci_u32_e64 v48, null, 0, -1, s1
	v_and_b32_e32 v46, 0xff, v41
	v_mov_b32_e32 v50, 0xf0f1
	v_mul_lo_u16 v45, 0xf1, v45
	v_cndmask_b32_e64 v53, v48, 0, vcc_lo
	v_cndmask_b32_e32 v52, v47, v78, vcc_lo
	v_mul_lo_u16 v48, 0xf1, v46
	v_mul_u32_u24_sdwa v47, v37, v50 dst_sel:DWORD dst_unused:UNUSED_PAD src0_sel:WORD_0 src1_sel:DWORD
	v_lshrrev_b16 v56, 13, v45
	v_mul_u32_u24_sdwa v45, v38, v50 dst_sel:DWORD dst_unused:UNUSED_PAD src0_sel:WORD_0 src1_sel:DWORD
	v_mul_u32_u24_sdwa v64, v40, v50 dst_sel:DWORD dst_unused:UNUSED_PAD src0_sel:WORD_0 src1_sel:DWORD
	v_lshrrev_b16 v48, 13, v48
	v_mul_u32_u24_sdwa v89, v43, v50 dst_sel:DWORD dst_unused:UNUSED_PAD src0_sel:WORD_0 src1_sel:DWORD
	v_mul_u32_u24_sdwa v50, v39, v50 dst_sel:DWORD dst_unused:UNUSED_PAD src0_sel:WORD_0 src1_sel:DWORD
	v_mul_lo_u16 v59, v56, 34
	v_lshrrev_b32_e32 v60, 21, v47
	v_mul_lo_u16 v61, v48, 34
	v_lshlrev_b64 v[53:54], 2, v[52:53]
	v_lshrrev_b32_e32 v63, 21, v45
	v_lshrrev_b32_e32 v50, 21, v50
	v_mov_b32_e32 v58, 2
	v_sub_nc_u16 v59, v42, v59
	v_sub_nc_u16 v61, v41, v61
	v_mul_lo_u16 v90, v60, 34
	v_lshrrev_b32_e32 v64, 21, v64
	v_mul_lo_u16 v91, v63, 34
	v_lshrrev_b32_e32 v99, 21, v89
	v_add_co_u32 v53, s1, s2, v53
	v_mul_lo_u16 v50, v50, 34
	v_add_co_ci_u32_e64 v54, s1, s3, v54, s1
	v_lshlrev_b32_sdwa v62, v58, v59 dst_sel:DWORD dst_unused:UNUSED_PAD src0_sel:DWORD src1_sel:BYTE_0
	v_lshlrev_b32_sdwa v89, v58, v61 dst_sel:DWORD dst_unused:UNUSED_PAD src0_sel:DWORD src1_sel:BYTE_0
	v_sub_nc_u16 v100, v37, v90
	v_mul_lo_u16 v90, v64, 34
	v_sub_nc_u16 v101, v38, v91
	v_mul_lo_u16 v91, v99, 34
	v_sub_nc_u16 v39, v39, v50
	s_clause 0x1
	global_load_dword v95, v[53:54], off offset:128
	global_load_dword v96, v89, s[2:3] offset:128
	v_lshlrev_b32_sdwa v53, v58, v100 dst_sel:DWORD dst_unused:UNUSED_PAD src0_sel:DWORD src1_sel:WORD_0
	v_sub_nc_u16 v40, v40, v90
	global_load_dword v97, v62, s[2:3] offset:128
	v_sub_nc_u16 v43, v43, v91
	v_and_b32_e32 v89, 0xffff, v39
	v_lshlrev_b32_sdwa v54, v58, v101 dst_sel:DWORD dst_unused:UNUSED_PAD src0_sel:DWORD src1_sel:WORD_0
	global_load_dword v94, v53, s[2:3] offset:128
	v_lshlrev_b32_sdwa v62, v58, v40 dst_sel:DWORD dst_unused:UNUSED_PAD src0_sel:DWORD src1_sel:WORD_0
	v_lshlrev_b32_sdwa v58, v58, v43 dst_sel:DWORD dst_unused:UNUSED_PAD src0_sel:DWORD src1_sel:WORD_0
	v_lshlrev_b32_e32 v39, 2, v89
	s_clause 0x2
	global_load_dword v93, v54, s[2:3] offset:128
	global_load_dword v92, v62, s[2:3] offset:128
	global_load_dword v91, v58, s[2:3] offset:128
	v_cmp_lt_u16_e64 s1, 33, v78
	v_mov_b32_e32 v102, 0x44
	global_load_dword v90, v39, s[2:3] offset:128
	s_waitcnt lgkmcnt(5)
	v_lshrrev_b32_e32 v50, 16, v17
	v_mad_u16 v40, 0x44, v64, v40
	v_cndmask_b32_e64 v98, 0, 0x44, s1
	v_mul_u32_u24_sdwa v56, v56, v102 dst_sel:DWORD dst_unused:UNUSED_PAD src0_sel:WORD_0 src1_sel:DWORD
	v_mul_u32_u24_sdwa v48, v48, v102 dst_sel:DWORD dst_unused:UNUSED_PAD src0_sel:WORD_0 src1_sel:DWORD
	v_mad_u16 v43, 0x44, v99, v43
	s_waitcnt lgkmcnt(4)
	v_lshrrev_b32_e32 v54, 16, v33
	v_add_nc_u32_e32 v52, v52, v98
	v_and_b32_e32 v40, 0xffff, v40
	v_add_nc_u32_sdwa v48, v48, v61 dst_sel:DWORD dst_unused:UNUSED_PAD src0_sel:DWORD src1_sel:BYTE_0
	v_and_b32_e32 v43, 0xffff, v43
	v_lshrrev_b32_e32 v62, 16, v34
	v_lshl_add_u32 v98, v52, 2, v81
	v_add_nc_u32_sdwa v52, v56, v59 dst_sel:DWORD dst_unused:UNUSED_PAD src0_sel:DWORD src1_sel:BYTE_0
	v_mad_u16 v56, 0x44, v60, v100
	v_lshl_add_u32 v99, v48, 2, v81
	v_mad_u16 v59, 0x44, v63, v101
	s_waitcnt lgkmcnt(2)
	v_lshrrev_b32_e32 v106, 16, v26
	v_lshl_add_u32 v104, v52, 2, v81
	v_and_b32_e32 v48, 0xffff, v56
	v_lshrrev_b32_e32 v108, 16, v27
	v_and_b32_e32 v52, 0xffff, v59
	s_waitcnt lgkmcnt(0)
	v_lshrrev_b32_e32 v112, 16, v24
	v_lshrrev_b32_e32 v39, 16, v18
	v_lshl_add_u32 v100, v48, 2, v81
	v_lshrrev_b32_e32 v114, 16, v25
	v_lshl_add_u32 v102, v40, 2, v81
	v_lshl_add_u32 v103, v43, 2, v81
	;; [unrolled: 1-line block ×3, first 2 shown]
	v_lshrrev_b32_e32 v53, 16, v19
	v_lshrrev_b32_e32 v58, 16, v22
	;; [unrolled: 1-line block ×6, first 2 shown]
	s_waitcnt vmcnt(0)
	s_barrier
	buffer_gl0_inv
	v_mul_f16_sdwa v48, v50, v95 dst_sel:DWORD dst_unused:UNUSED_PAD src0_sel:DWORD src1_sel:WORD_1
	v_mul_f16_sdwa v56, v17, v95 dst_sel:DWORD dst_unused:UNUSED_PAD src0_sel:DWORD src1_sel:WORD_1
	;; [unrolled: 1-line block ×3, first 2 shown]
	v_fma_f16 v17, v17, v95, -v48
	v_fmac_f16_e32 v56, v50, v95
	v_mul_f16_sdwa v43, v33, v97 dst_sel:DWORD dst_unused:UNUSED_PAD src0_sel:DWORD src1_sel:WORD_1
	v_mul_f16_sdwa v48, v62, v96 dst_sel:DWORD dst_unused:UNUSED_PAD src0_sel:DWORD src1_sel:WORD_1
	;; [unrolled: 1-line block ×11, first 2 shown]
	v_sub_f16_e32 v17, v18, v17
	v_sub_f16_e32 v56, v39, v56
	v_fma_f16 v33, v33, v97, -v40
	v_fmac_f16_e32 v43, v54, v97
	v_fma_f16 v34, v34, v96, -v48
	v_fmac_f16_e32 v50, v62, v96
	;; [unrolled: 2-line block ×4, first 2 shown]
	v_mul_f16_sdwa v40, v57, v90 dst_sel:DWORD dst_unused:UNUSED_PAD src0_sel:DWORD src1_sel:WORD_1
	v_fma_f16 v24, v24, v92, -v63
	v_fmac_f16_e32 v64, v112, v92
	v_fma_f16 v25, v25, v91, -v115
	v_fmac_f16_e32 v116, v114, v91
	v_mul_f16_sdwa v48, v55, v90 dst_sel:DWORD dst_unused:UNUSED_PAD src0_sel:DWORD src1_sel:WORD_1
	v_fma_f16 v18, v18, 2.0, -v17
	v_fma_f16 v39, v39, 2.0, -v56
	v_sub_f16_e32 v33, v19, v33
	v_sub_f16_e32 v43, v53, v43
	;; [unrolled: 1-line block ×6, first 2 shown]
	v_fma_f16 v40, v55, v90, -v40
	v_sub_f16_e32 v27, v20, v27
	v_sub_f16_e32 v55, v107, v61
	v_pack_b32_f16 v17, v17, v56
	v_sub_f16_e32 v24, v21, v24
	v_sub_f16_e32 v56, v111, v64
	v_fmac_f16_e32 v48, v57, v90
	v_sub_f16_e32 v25, v16, v25
	v_sub_f16_e32 v57, v113, v116
	v_pack_b32_f16 v18, v18, v39
	v_fma_f16 v19, v19, 2.0, -v33
	v_fma_f16 v39, v53, 2.0, -v43
	;; [unrolled: 1-line block ×12, first 2 shown]
	v_sub_f16_e32 v50, v35, v40
	v_sub_f16_e32 v53, v36, v48
	v_pack_b32_f16 v33, v33, v43
	ds_write2_b32 v98, v18, v17 offset1:34
	v_pack_b32_f16 v17, v19, v39
	v_pack_b32_f16 v34, v34, v52
	;; [unrolled: 1-line block ×11, first 2 shown]
	ds_write2_b32 v104, v17, v33 offset1:34
	ds_write2_b32 v99, v18, v34 offset1:34
	;; [unrolled: 1-line block ×6, first 2 shown]
	s_and_saveexec_b32 s1, vcc_lo
	s_cbranch_execz .LBB0_15
; %bb.14:
	v_fma_f16 v16, v35, 2.0, -v50
	v_fma_f16 v17, v36, 2.0, -v53
	v_lshl_add_u32 v18, v89, 2, v81
	v_perm_b32 v19, v53, v50, 0x5040100
	v_pack_b32_f16 v16, v16, v17
	v_add_nc_u32_e32 v17, 0xc00, v18
	ds_write2_b32 v17, v16, v19 offset0:184 offset1:218
.LBB0_15:
	s_or_b32 exec_lo, exec_lo, s1
	v_lshlrev_b32_e32 v16, 2, v44
	s_waitcnt lgkmcnt(0)
	s_barrier
	buffer_gl0_inv
	v_lshrrev_b32_e32 v17, 22, v47
	global_load_dwordx2 v[33:34], v16, s[2:3] offset:264
	v_mul_lo_u16 v16, 0x79, v46
	v_lshrrev_b32_e32 v18, 22, v45
	v_add_nc_u32_e32 v52, 0x400, v65
	v_mul_lo_u16 v17, 0x44, v17
	v_add_nc_u32_e32 v47, 0x800, v65
	v_lshrrev_b16 v16, 13, v16
	v_mul_lo_u16 v18, 0x44, v18
	v_add_nc_u32_e32 v54, 0xc00, v65
	v_sub_nc_u16 v45, v37, v17
	v_lshlrev_b32_e32 v56, 4, v78
	v_mul_lo_u16 v16, 0x44, v16
	v_sub_nc_u16 v46, v38, v18
	v_lshlrev_b16 v17, 3, v45
	v_and_b32_e32 v45, 0xffff, v45
	v_sub_nc_u16 v16, v41, v16
	v_lshlrev_b16 v18, 3, v46
	v_and_b32_e32 v46, 0xffff, v46
	v_lshl_add_u32 v107, v45, 2, v81
	v_and_b32_e32 v48, 0xff, v16
	v_and_b32_e32 v16, 0xffff, v17
	;; [unrolled: 1-line block ×3, first 2 shown]
	v_lshl_add_u32 v106, v46, 2, v81
	v_lshlrev_b32_e32 v19, 3, v48
	v_add_co_u32 v16, s1, s2, v16
	v_add_co_ci_u32_e64 v17, null, s3, 0, s1
	v_add_co_u32 v18, s1, s2, v18
	global_load_dwordx2 v[39:40], v19, s[2:3] offset:264
	v_add_co_ci_u32_e64 v19, null, s3, 0, s1
	s_clause 0x1
	global_load_dwordx2 v[37:38], v[16:17], off offset:264
	global_load_dwordx2 v[35:36], v[18:19], off offset:264
	ds_read2_b32 v[16:17], v65 offset1:68
	ds_read2_b32 v[18:19], v65 offset0:136 offset1:204
	ds_read_b32 v55, v65 offset:3808
	ds_read2_b32 v[20:21], v52 offset0:16 offset1:84
	ds_read2_b32 v[22:23], v47 offset0:168 offset1:236
	;; [unrolled: 1-line block ×5, first 2 shown]
	s_waitcnt vmcnt(0) lgkmcnt(0)
	s_barrier
	buffer_gl0_inv
	v_lshl_add_u32 v108, v48, 2, v81
	v_add_nc_u32_e32 v48, 0x800, v107
	v_add_nc_u32_e32 v115, 0xc00, v106
	;; [unrolled: 1-line block ×3, first 2 shown]
	v_lshrrev_b32_e32 v45, 16, v21
	v_lshrrev_b32_e32 v46, 16, v22
	;; [unrolled: 1-line block ×15, first 2 shown]
	v_mul_f16_sdwa v117, v45, v33 dst_sel:DWORD dst_unused:UNUSED_PAD src0_sel:DWORD src1_sel:WORD_1
	v_mul_f16_sdwa v118, v21, v33 dst_sel:DWORD dst_unused:UNUSED_PAD src0_sel:DWORD src1_sel:WORD_1
	;; [unrolled: 1-line block ×8, first 2 shown]
	v_fma_f16 v21, v21, v33, -v117
	v_fmac_f16_e32 v118, v45, v33
	v_fma_f16 v22, v22, v34, -v119
	v_fmac_f16_e32 v120, v46, v34
	;; [unrolled: 2-line block ×3, first 2 shown]
	v_fmac_f16_e32 v124, v63, v34
	v_fma_f16 v23, v23, v34, -v123
	v_add_f16_e32 v45, v16, v21
	v_add_f16_e32 v46, v21, v22
	v_sub_f16_e32 v62, v118, v120
	v_add_f16_e32 v63, v57, v118
	v_add_f16_e32 v117, v118, v120
	;; [unrolled: 1-line block ×3, first 2 shown]
	v_sub_f16_e32 v121, v122, v124
	v_add_f16_e32 v123, v58, v122
	v_add_f16_e32 v122, v122, v124
	;; [unrolled: 1-line block ×3, first 2 shown]
	v_sub_f16_e32 v21, v21, v22
	v_sub_f16_e32 v24, v24, v23
	v_add_f16_e32 v22, v45, v22
	v_fma_f16 v16, -0.5, v46, v16
	v_add_f16_e32 v45, v63, v120
	v_fmac_f16_e32 v57, -0.5, v117
	v_add_f16_e32 v23, v118, v23
	v_add_f16_e32 v46, v123, v124
	v_fmac_f16_e32 v58, -0.5, v122
	v_fmac_f16_e32 v17, -0.5, v119
	v_fmamk_f16 v63, v62, 0x3aee, v16
	v_fmac_f16_e32 v16, 0xbaee, v62
	v_fmamk_f16 v62, v21, 0xbaee, v57
	v_fmamk_f16 v117, v24, 0xbaee, v58
	v_fmac_f16_e32 v58, 0x3aee, v24
	v_pack_b32_f16 v22, v22, v45
	v_pack_b32_f16 v23, v23, v46
	v_mul_f16_sdwa v24, v64, v39 dst_sel:DWORD dst_unused:UNUSED_PAD src0_sel:DWORD src1_sel:WORD_1
	v_mul_f16_sdwa v45, v25, v39 dst_sel:DWORD dst_unused:UNUSED_PAD src0_sel:DWORD src1_sel:WORD_1
	;; [unrolled: 1-line block ×4, first 2 shown]
	v_fmac_f16_e32 v57, 0x3aee, v21
	v_fmamk_f16 v21, v121, 0x3aee, v17
	v_fmac_f16_e32 v17, 0xbaee, v121
	v_mul_f16_sdwa v119, v111, v37 dst_sel:DWORD dst_unused:UNUSED_PAD src0_sel:DWORD src1_sel:WORD_1
	v_mul_f16_sdwa v120, v43, v37 dst_sel:DWORD dst_unused:UNUSED_PAD src0_sel:DWORD src1_sel:WORD_1
	;; [unrolled: 1-line block ×8, first 2 shown]
	v_pack_b32_f16 v62, v63, v62
	v_fma_f16 v24, v25, v39, -v24
	v_fmac_f16_e32 v45, v64, v39
	v_fma_f16 v25, v26, v40, -v46
	v_fmac_f16_e32 v118, v105, v40
	v_pack_b32_f16 v16, v16, v57
	v_pack_b32_f16 v21, v21, v117
	;; [unrolled: 1-line block ×3, first 2 shown]
	v_fma_f16 v26, v43, v37, -v119
	v_fmac_f16_e32 v120, v111, v37
	v_fma_f16 v27, v27, v38, -v121
	v_fmac_f16_e32 v122, v112, v38
	;; [unrolled: 2-line block ×4, first 2 shown]
	ds_write2_b32 v65, v22, v62 offset1:68
	ds_write2_b32 v65, v16, v23 offset0:136 offset1:204
	ds_write2_b32 v52, v21, v17 offset0:16 offset1:84
	v_add_f16_e32 v17, v24, v25
	v_add_f16_e32 v23, v45, v118
	;; [unrolled: 1-line block ×7, first 2 shown]
	v_sub_f16_e32 v21, v45, v118
	v_add_f16_e32 v22, v59, v45
	v_sub_f16_e32 v24, v24, v25
	v_add_f16_e32 v61, v20, v43
	v_fma_f16 v17, -0.5, v17, v18
	v_fmac_f16_e32 v59, -0.5, v23
	v_add_f16_e32 v45, v19, v26
	v_sub_f16_e32 v55, v120, v122
	v_add_f16_e32 v57, v60, v120
	v_sub_f16_e32 v26, v26, v27
	v_fmac_f16_e32 v19, -0.5, v46
	v_fmac_f16_e32 v60, -0.5, v58
	v_sub_f16_e32 v63, v124, v126
	v_add_f16_e32 v64, v113, v124
	v_sub_f16_e32 v43, v43, v44
	v_fmac_f16_e32 v20, -0.5, v62
	v_fmac_f16_e32 v113, -0.5, v105
	v_add_f16_e32 v16, v16, v25
	v_add_f16_e32 v18, v22, v118
	;; [unrolled: 1-line block ×3, first 2 shown]
	v_fmamk_f16 v44, v21, 0x3aee, v17
	v_fmac_f16_e32 v17, 0xbaee, v21
	v_fmamk_f16 v21, v24, 0xbaee, v59
	v_fmac_f16_e32 v59, 0x3aee, v24
	v_add_f16_e32 v22, v45, v27
	v_add_f16_e32 v23, v57, v122
	v_fmamk_f16 v24, v55, 0x3aee, v19
	v_fmamk_f16 v45, v26, 0xbaee, v60
	v_fmac_f16_e32 v19, 0xbaee, v55
	v_fmac_f16_e32 v60, 0x3aee, v26
	v_add_f16_e32 v27, v64, v126
	v_fmamk_f16 v26, v63, 0x3aee, v20
	v_fmamk_f16 v46, v43, 0xbaee, v113
	v_fmac_f16_e32 v20, 0xbaee, v63
	v_fmac_f16_e32 v113, 0x3aee, v43
	v_pack_b32_f16 v16, v16, v18
	v_pack_b32_f16 v21, v44, v21
	;; [unrolled: 1-line block ×9, first 2 shown]
	ds_write2_b32 v116, v16, v21 offset0:152 offset1:220
	ds_write_b32 v108, v17 offset:2176
	ds_write2_b32 v48, v18, v23 offset0:100 offset1:168
	ds_write_b32 v107, v19 offset:2992
	ds_write2_b32 v115, v22, v24 offset0:48 offset1:116
	ds_write_b32 v106, v20 offset:3808
	v_lshlrev_b32_e32 v16, 4, v42
	s_waitcnt lgkmcnt(0)
	s_barrier
	buffer_gl0_inv
	s_clause 0x1
	global_load_dwordx4 v[24:27], v56, s[2:3] offset:808
	global_load_dwordx4 v[20:23], v16, s[2:3] offset:808
	v_lshlrev_b32_e32 v16, 4, v41
	v_lshl_add_u32 v105, v78, 2, v81
	v_add_nc_u32_e32 v48, 0x300, v65
	v_add_co_u32 v45, s1, 0xff0, v30
	global_load_dwordx4 v[16:19], v16, s[2:3] offset:808
	ds_read2_b32 v[43:44], v65 offset1:68
	ds_read2_b32 v[41:42], v65 offset0:136 offset1:204
	ds_read2_b32 v[55:56], v52 offset0:152 offset1:220
	;; [unrolled: 1-line block ×6, first 2 shown]
	ds_read_b32 v111, v65 offset:3808
	v_add_nc_u32_e32 v113, 0x900, v105
	v_add_co_ci_u32_e64 v46, s1, 0, v31, s1
	v_add_nc_u32_e32 v112, 0x600, v65
	s_waitcnt lgkmcnt(7)
	v_lshrrev_b32_e32 v114, 16, v43
	s_waitcnt lgkmcnt(6)
	v_lshrrev_b32_e32 v115, 16, v42
	s_waitcnt lgkmcnt(5)
	v_lshrrev_b32_e32 v116, 16, v55
	s_waitcnt lgkmcnt(4)
	v_lshrrev_b32_e32 v117, 16, v58
	s_waitcnt lgkmcnt(3)
	v_lshrrev_b32_e32 v118, 16, v59
	s_waitcnt lgkmcnt(2)
	v_lshrrev_b32_e32 v120, 16, v61
	v_lshrrev_b32_e32 v121, 16, v56
	s_waitcnt lgkmcnt(1)
	v_lshrrev_b32_e32 v122, 16, v63
	v_lshrrev_b32_e32 v123, 16, v60
	;; [unrolled: 1-line block ×5, first 2 shown]
	s_waitcnt lgkmcnt(0)
	v_lshrrev_b32_e32 v128, 16, v111
	v_lshrrev_b32_e32 v119, 16, v44
	;; [unrolled: 1-line block ×3, first 2 shown]
	s_waitcnt vmcnt(2)
	v_mul_f16_sdwa v129, v115, v24 dst_sel:DWORD dst_unused:UNUSED_PAD src0_sel:DWORD src1_sel:WORD_1
	v_mul_f16_sdwa v130, v42, v24 dst_sel:DWORD dst_unused:UNUSED_PAD src0_sel:DWORD src1_sel:WORD_1
	v_mul_f16_sdwa v131, v116, v25 dst_sel:DWORD dst_unused:UNUSED_PAD src0_sel:DWORD src1_sel:WORD_1
	v_mul_f16_sdwa v132, v55, v25 dst_sel:DWORD dst_unused:UNUSED_PAD src0_sel:DWORD src1_sel:WORD_1
	v_mul_f16_sdwa v133, v117, v26 dst_sel:DWORD dst_unused:UNUSED_PAD src0_sel:DWORD src1_sel:WORD_1
	v_mul_f16_sdwa v134, v58, v26 dst_sel:DWORD dst_unused:UNUSED_PAD src0_sel:DWORD src1_sel:WORD_1
	v_mul_f16_sdwa v135, v118, v27 dst_sel:DWORD dst_unused:UNUSED_PAD src0_sel:DWORD src1_sel:WORD_1
	v_mul_f16_sdwa v136, v59, v27 dst_sel:DWORD dst_unused:UNUSED_PAD src0_sel:DWORD src1_sel:WORD_1
	s_waitcnt vmcnt(1)
	v_mul_f16_sdwa v137, v120, v20 dst_sel:DWORD dst_unused:UNUSED_PAD src0_sel:DWORD src1_sel:WORD_1
	v_mul_f16_sdwa v138, v61, v20 dst_sel:DWORD dst_unused:UNUSED_PAD src0_sel:DWORD src1_sel:WORD_1
	v_mul_f16_sdwa v139, v121, v21 dst_sel:DWORD dst_unused:UNUSED_PAD src0_sel:DWORD src1_sel:WORD_1
	v_mul_f16_sdwa v140, v56, v21 dst_sel:DWORD dst_unused:UNUSED_PAD src0_sel:DWORD src1_sel:WORD_1
	v_mul_f16_sdwa v141, v122, v22 dst_sel:DWORD dst_unused:UNUSED_PAD src0_sel:DWORD src1_sel:WORD_1
	v_mul_f16_sdwa v142, v63, v22 dst_sel:DWORD dst_unused:UNUSED_PAD src0_sel:DWORD src1_sel:WORD_1
	v_mul_f16_sdwa v143, v123, v23 dst_sel:DWORD dst_unused:UNUSED_PAD src0_sel:DWORD src1_sel:WORD_1
	v_mul_f16_sdwa v144, v60, v23 dst_sel:DWORD dst_unused:UNUSED_PAD src0_sel:DWORD src1_sel:WORD_1
	s_waitcnt vmcnt(0)
	v_mul_f16_sdwa v145, v125, v16 dst_sel:DWORD dst_unused:UNUSED_PAD src0_sel:DWORD src1_sel:WORD_1
	v_mul_f16_sdwa v146, v62, v16 dst_sel:DWORD dst_unused:UNUSED_PAD src0_sel:DWORD src1_sel:WORD_1
	v_mul_f16_sdwa v147, v126, v17 dst_sel:DWORD dst_unused:UNUSED_PAD src0_sel:DWORD src1_sel:WORD_1
	v_mul_f16_sdwa v148, v57, v17 dst_sel:DWORD dst_unused:UNUSED_PAD src0_sel:DWORD src1_sel:WORD_1
	v_mul_f16_sdwa v149, v127, v18 dst_sel:DWORD dst_unused:UNUSED_PAD src0_sel:DWORD src1_sel:WORD_1
	v_mul_f16_sdwa v150, v64, v18 dst_sel:DWORD dst_unused:UNUSED_PAD src0_sel:DWORD src1_sel:WORD_1
	v_mul_f16_sdwa v151, v128, v19 dst_sel:DWORD dst_unused:UNUSED_PAD src0_sel:DWORD src1_sel:WORD_1
	v_mul_f16_sdwa v152, v111, v19 dst_sel:DWORD dst_unused:UNUSED_PAD src0_sel:DWORD src1_sel:WORD_1
	v_fma_f16 v42, v42, v24, -v129
	v_fmac_f16_e32 v130, v115, v24
	v_fma_f16 v55, v55, v25, -v131
	v_fmac_f16_e32 v132, v116, v25
	;; [unrolled: 2-line block ×12, first 2 shown]
	v_add_f16_e32 v116, v55, v58
	v_sub_f16_e32 v120, v42, v55
	v_sub_f16_e32 v121, v59, v58
	v_add_f16_e32 v122, v42, v59
	v_sub_f16_e32 v123, v55, v42
	v_sub_f16_e32 v125, v58, v59
	v_add_f16_e32 v126, v114, v130
	v_add_f16_e32 v127, v132, v134
	;; [unrolled: 1-line block ×4, first 2 shown]
	v_sub_f16_e32 v129, v130, v132
	v_sub_f16_e32 v131, v136, v134
	v_add_f16_e32 v137, v44, v61
	v_add_f16_e32 v139, v56, v63
	;; [unrolled: 1-line block ×12, first 2 shown]
	v_sub_f16_e32 v117, v130, v136
	v_sub_f16_e32 v118, v132, v134
	;; [unrolled: 1-line block ×10, first 2 shown]
	v_fma_f16 v116, -0.5, v116, v43
	v_add_f16_e32 v120, v120, v121
	v_fma_f16 v43, -0.5, v122, v43
	v_add_f16_e32 v121, v123, v125
	v_add_f16_e32 v122, v126, v132
	v_fma_f16 v123, -0.5, v127, v114
	v_fmac_f16_e32 v114, -0.5, v133
	v_sub_f16_e32 v130, v132, v130
	v_sub_f16_e32 v135, v134, v136
	;; [unrolled: 1-line block ×13, first 2 shown]
	v_add_f16_e32 v177, v111, v55
	v_add_f16_e32 v125, v129, v131
	;; [unrolled: 1-line block ×3, first 2 shown]
	v_fma_f16 v127, -0.5, v139, v44
	v_fmac_f16_e32 v44, -0.5, v149
	v_add_f16_e32 v131, v154, v140
	v_fma_f16 v132, -0.5, v155, v119
	v_fmac_f16_e32 v119, -0.5, v159
	v_add_f16_e32 v57, v161, v57
	;; [unrolled: 3-line block ×4, first 2 shown]
	v_add_f16_e32 v145, v146, v176
	v_fmamk_f16 v146, v117, 0x3b9c, v116
	v_fmamk_f16 v147, v118, 0xbb9c, v43
	v_add_f16_e32 v122, v122, v134
	v_fmamk_f16 v134, v42, 0xbb9c, v123
	v_fmamk_f16 v148, v128, 0x3b9c, v114
	v_fmac_f16_e32 v116, 0xbb9c, v117
	v_fmac_f16_e32 v43, 0x3b9c, v118
	;; [unrolled: 1-line block ×4, first 2 shown]
	v_sub_f16_e32 v157, v138, v140
	v_sub_f16_e32 v158, v144, v142
	;; [unrolled: 1-line block ×7, first 2 shown]
	v_add_f16_e32 v126, v130, v135
	v_add_f16_e32 v130, v151, v153
	;; [unrolled: 1-line block ×3, first 2 shown]
	v_fmamk_f16 v63, v141, 0x3b9c, v127
	v_fmamk_f16 v149, v143, 0xbb9c, v44
	v_fmac_f16_e32 v44, 0x3b9c, v143
	v_add_f16_e32 v131, v131, v142
	v_fmamk_f16 v142, v61, 0xbb9c, v132
	v_fmamk_f16 v151, v156, 0x3b9c, v119
	v_fmac_f16_e32 v119, 0xbb9c, v156
	v_add_f16_e32 v57, v57, v64
	v_fmamk_f16 v64, v163, 0x3b9c, v55
	v_fmamk_f16 v153, v164, 0xbb9c, v41
	v_fmac_f16_e32 v41, 0x3b9c, v164
	v_add_f16_e32 v139, v139, v150
	v_fmamk_f16 v150, v62, 0xbb9c, v111
	v_fmamk_f16 v154, v172, 0x3b9c, v124
	v_fmac_f16_e32 v124, 0xbb9c, v172
	v_add_f16_e32 v58, v177, v58
	v_fmac_f16_e32 v127, 0xbb9c, v141
	v_fmac_f16_e32 v132, 0x3b9c, v61
	;; [unrolled: 1-line block ×12, first 2 shown]
	v_add_f16_e32 v133, v157, v158
	v_add_f16_e32 v135, v138, v160
	;; [unrolled: 1-line block ×5, first 2 shown]
	v_fmac_f16_e32 v63, 0x38b4, v143
	v_fmac_f16_e32 v44, 0xb8b4, v141
	;; [unrolled: 1-line block ×8, first 2 shown]
	v_add_f16_e32 v58, v58, v59
	v_add_f16_e32 v59, v122, v136
	;; [unrolled: 1-line block ×3, first 2 shown]
	v_fmac_f16_e32 v127, 0xb8b4, v143
	v_fmac_f16_e32 v149, 0x38b4, v141
	v_add_f16_e32 v56, v131, v144
	v_fmac_f16_e32 v132, 0x38b4, v156
	v_fmac_f16_e32 v151, 0xb8b4, v61
	v_add_f16_e32 v57, v57, v115
	;; [unrolled: 3-line block ×3, first 2 shown]
	v_fmac_f16_e32 v111, 0x38b4, v172
	v_fmac_f16_e32 v154, 0xb8b4, v62
	;; [unrolled: 1-line block ×26, first 2 shown]
	v_pack_b32_f16 v58, v58, v59
	v_pack_b32_f16 v42, v42, v56
	;; [unrolled: 1-line block ×15, first 2 shown]
	ds_write2_b32 v48, v57, v59 offset0:12 offset1:216
	ds_write2_b32 v113, v43, v60 offset0:36 offset1:240
	ds_write2_b32 v65, v58, v42 offset1:68
	ds_write_b32 v65, v56 offset:544
	ds_write2_b32 v52, v61, v64 offset0:16 offset1:84
	ds_write2_b32 v112, v62, v114 offset0:92 offset1:160
	;; [unrolled: 1-line block ×4, first 2 shown]
	s_waitcnt lgkmcnt(0)
	s_barrier
	buffer_gl0_inv
	global_load_dword v44, v[28:29], off offset:2032
	v_add_co_u32 v41, s1, 0x1800, v30
	v_add_co_ci_u32_e64 v42, s1, 0, v31, s1
	s_clause 0xc
	global_load_dword v48, v[45:46], off offset:2040
	global_load_dword v64, v[45:46], off offset:272
	;; [unrolled: 1-line block ×13, first 2 shown]
	ds_read2_b32 v[42:43], v65 offset1:68
	ds_read2_b32 v[56:57], v52 offset0:152 offset1:254
	v_add_nc_u32_e32 v41, 0xa00, v65
	ds_read2_b32 v[58:59], v47 offset0:66 offset1:134
	ds_read2_b32 v[60:61], v65 offset0:136 offset1:204
	;; [unrolled: 1-line block ×5, first 2 shown]
	s_waitcnt lgkmcnt(6)
	v_lshrrev_b32_e32 v127, 16, v42
	v_lshrrev_b32_e32 v129, 16, v43
	s_waitcnt lgkmcnt(5)
	v_lshrrev_b32_e32 v128, 16, v57
	s_waitcnt lgkmcnt(4)
	v_lshrrev_b32_e32 v130, 16, v58
	v_lshrrev_b32_e32 v132, 16, v59
	s_waitcnt lgkmcnt(3)
	v_lshrrev_b32_e32 v131, 16, v60
	;; [unrolled: 3-line block ×5, first 2 shown]
	v_lshrrev_b32_e32 v139, 16, v56
	v_lshrrev_b32_e32 v140, 16, v115
	s_waitcnt vmcnt(12)
	v_mul_f16_sdwa v143, v128, v48 dst_sel:DWORD dst_unused:UNUSED_PAD src0_sel:DWORD src1_sel:WORD_1
	s_waitcnt vmcnt(11)
	v_mul_f16_sdwa v145, v129, v64 dst_sel:DWORD dst_unused:UNUSED_PAD src0_sel:DWORD src1_sel:WORD_1
	v_mul_f16_sdwa v146, v43, v64 dst_sel:DWORD dst_unused:UNUSED_PAD src0_sel:DWORD src1_sel:WORD_1
	v_mul_f16_sdwa v144, v57, v48 dst_sel:DWORD dst_unused:UNUSED_PAD src0_sel:DWORD src1_sel:WORD_1
	s_waitcnt vmcnt(10)
	v_mul_f16_sdwa v147, v130, v116 dst_sel:DWORD dst_unused:UNUSED_PAD src0_sel:DWORD src1_sel:WORD_1
	v_mul_f16_sdwa v148, v58, v116 dst_sel:DWORD dst_unused:UNUSED_PAD src0_sel:DWORD src1_sel:WORD_1
	v_mul_f16_sdwa v141, v127, v44 dst_sel:DWORD dst_unused:UNUSED_PAD src0_sel:DWORD src1_sel:WORD_1
	v_mul_f16_sdwa v142, v42, v44 dst_sel:DWORD dst_unused:UNUSED_PAD src0_sel:DWORD src1_sel:WORD_1
	s_waitcnt vmcnt(8)
	v_mul_f16_sdwa v151, v132, v118 dst_sel:DWORD dst_unused:UNUSED_PAD src0_sel:DWORD src1_sel:WORD_1
	;; [unrolled: 5-line block ×3, first 2 shown]
	v_mul_f16_sdwa v154, v61, v119 dst_sel:DWORD dst_unused:UNUSED_PAD src0_sel:DWORD src1_sel:WORD_1
	s_waitcnt vmcnt(6)
	v_mul_f16_sdwa v155, v134, v120 dst_sel:DWORD dst_unused:UNUSED_PAD src0_sel:DWORD src1_sel:WORD_1
	v_mul_f16_sdwa v156, v62, v120 dst_sel:DWORD dst_unused:UNUSED_PAD src0_sel:DWORD src1_sel:WORD_1
	s_waitcnt vmcnt(4)
	v_mul_f16_sdwa v159, v136, v122 dst_sel:DWORD dst_unused:UNUSED_PAD src0_sel:DWORD src1_sel:WORD_1
	v_mul_f16_sdwa v160, v63, v122 dst_sel:DWORD dst_unused:UNUSED_PAD src0_sel:DWORD src1_sel:WORD_1
	;; [unrolled: 1-line block ×4, first 2 shown]
	s_waitcnt vmcnt(3)
	v_mul_f16_sdwa v161, v137, v123 dst_sel:DWORD dst_unused:UNUSED_PAD src0_sel:DWORD src1_sel:WORD_1
	v_mul_f16_sdwa v162, v113, v123 dst_sel:DWORD dst_unused:UNUSED_PAD src0_sel:DWORD src1_sel:WORD_1
	s_waitcnt vmcnt(2)
	v_mul_f16_sdwa v163, v138, v124 dst_sel:DWORD dst_unused:UNUSED_PAD src0_sel:DWORD src1_sel:WORD_1
	v_mul_f16_sdwa v164, v114, v124 dst_sel:DWORD dst_unused:UNUSED_PAD src0_sel:DWORD src1_sel:WORD_1
	;; [unrolled: 3-line block ×4, first 2 shown]
	v_fma_f16 v42, v42, v44, -v141
	v_fmac_f16_e32 v142, v127, v44
	v_fma_f16 v43, v43, v64, -v145
	v_fmac_f16_e32 v146, v129, v64
	;; [unrolled: 2-line block ×14, first 2 shown]
	v_pack_b32_f16 v42, v42, v142
	v_pack_b32_f16 v43, v43, v146
	;; [unrolled: 1-line block ×14, first 2 shown]
	ds_write2_b32 v65, v42, v43 offset1:68
	ds_write2_b32 v47, v48, v58 offset0:66 offset1:134
	ds_write2_b32 v65, v57, v59 offset0:136 offset1:204
	ds_write2_b32 v41, v60, v62 offset0:74 offset1:142
	ds_write2_b32 v52, v61, v63 offset0:16 offset1:84
	ds_write2_b32 v52, v56, v44 offset0:152 offset1:254
	ds_write2_b32 v54, v64, v112 offset0:82 offset1:150
	s_and_saveexec_b32 s2, vcc_lo
	s_cbranch_execz .LBB0_17
; %bb.16:
	v_add_co_u32 v42, s1, 0x800, v45
	v_add_co_ci_u32_e64 v43, s1, 0, v46, s1
	s_clause 0x1
	global_load_dword v44, v[45:46], off offset:1904
	global_load_dword v42, v[42:43], off offset:1896
	ds_read_b32 v43, v65 offset:1904
	ds_read_b32 v45, v65 offset:3944
	s_waitcnt lgkmcnt(1)
	v_lshrrev_b32_e32 v46, 16, v43
	s_waitcnt lgkmcnt(0)
	v_lshrrev_b32_e32 v48, 16, v45
	s_waitcnt vmcnt(1)
	v_mul_f16_sdwa v56, v46, v44 dst_sel:DWORD dst_unused:UNUSED_PAD src0_sel:DWORD src1_sel:WORD_1
	v_mul_f16_sdwa v57, v43, v44 dst_sel:DWORD dst_unused:UNUSED_PAD src0_sel:DWORD src1_sel:WORD_1
	s_waitcnt vmcnt(0)
	v_mul_f16_sdwa v58, v48, v42 dst_sel:DWORD dst_unused:UNUSED_PAD src0_sel:DWORD src1_sel:WORD_1
	v_mul_f16_sdwa v59, v45, v42 dst_sel:DWORD dst_unused:UNUSED_PAD src0_sel:DWORD src1_sel:WORD_1
	v_fma_f16 v43, v43, v44, -v56
	v_fmac_f16_e32 v57, v46, v44
	v_fma_f16 v44, v45, v42, -v58
	v_fmac_f16_e32 v59, v48, v42
	v_pack_b32_f16 v42, v43, v57
	v_pack_b32_f16 v43, v44, v59
	ds_write_b32 v65, v42 offset:1904
	ds_write_b32 v65, v43 offset:3944
.LBB0_17:
	s_or_b32 exec_lo, exec_lo, s2
	s_waitcnt lgkmcnt(0)
	s_barrier
	buffer_gl0_inv
	ds_read2_b32 v[61:62], v65 offset1:68
	ds_read2_b32 v[45:46], v52 offset0:152 offset1:254
	ds_read2_b32 v[43:44], v47 offset0:66 offset1:134
	;; [unrolled: 1-line block ×6, first 2 shown]
	s_and_saveexec_b32 s1, vcc_lo
	s_cbranch_execz .LBB0_19
; %bb.18:
	ds_read_b32 v55, v105 offset:1904
	ds_read_b32 v50, v105 offset:3944
	s_waitcnt lgkmcnt(1)
	v_lshrrev_b32_e32 v111, 16, v55
	s_waitcnt lgkmcnt(0)
	v_lshrrev_b32_e32 v53, 16, v50
.LBB0_19:
	s_or_b32 exec_lo, exec_lo, s1
	s_waitcnt lgkmcnt(5)
	v_pk_add_f16 v42, v61, v46 neg_lo:[0,1] neg_hi:[0,1]
	s_waitcnt lgkmcnt(4)
	v_pk_add_f16 v54, v62, v43 neg_lo:[0,1] neg_hi:[0,1]
	;; [unrolled: 2-line block ×4, first 2 shown]
	v_sub_f16_e32 v44, v55, v50
	v_sub_f16_e32 v112, v111, v53
	s_waitcnt lgkmcnt(1)
	v_pk_add_f16 v50, v57, v48 neg_lo:[0,1] neg_hi:[0,1]
	s_waitcnt lgkmcnt(0)
	v_pk_add_f16 v48, v58, v63 neg_lo:[0,1] neg_hi:[0,1]
	v_pk_add_f16 v46, v45, v64 neg_lo:[0,1] neg_hi:[0,1]
	v_pk_fma_f16 v41, v61, 2.0, v42 op_sel_hi:[1,0,1] neg_lo:[0,0,1] neg_hi:[0,0,1]
	v_pk_fma_f16 v53, v62, 2.0, v54 op_sel_hi:[1,0,1] neg_lo:[0,0,1] neg_hi:[0,0,1]
	v_fma_f16 v43, v55, 2.0, -v44
	v_fma_f16 v111, v111, 2.0, -v112
	s_barrier
	buffer_gl0_inv
	ds_write_b64 v49, v[41:42]
	ds_write_b64 v51, v[53:54]
	v_pk_fma_f16 v51, v59, 2.0, v52 op_sel_hi:[1,0,1] neg_lo:[0,0,1] neg_hi:[0,0,1]
	v_pk_fma_f16 v55, v60, 2.0, v56 op_sel_hi:[1,0,1] neg_lo:[0,0,1] neg_hi:[0,0,1]
	v_pk_fma_f16 v49, v57, 2.0, v50 op_sel_hi:[1,0,1] neg_lo:[0,0,1] neg_hi:[0,0,1]
	v_pk_fma_f16 v47, v58, 2.0, v48 op_sel_hi:[1,0,1] neg_lo:[0,0,1] neg_hi:[0,0,1]
	v_pk_fma_f16 v45, v45, 2.0, v46 op_sel_hi:[1,0,1] neg_lo:[0,0,1] neg_hi:[0,0,1]
	ds_write_b64 v83, v[51:52]
	ds_write_b64 v84, v[55:56]
	;; [unrolled: 1-line block ×5, first 2 shown]
	s_and_saveexec_b32 s1, vcc_lo
	s_cbranch_execz .LBB0_21
; %bb.20:
	v_perm_b32 v58, v112, v44, 0x5040100
	v_perm_b32 v57, v111, v43, 0x5040100
	ds_write_b64 v86, v[57:58]
.LBB0_21:
	s_or_b32 exec_lo, exec_lo, s1
	v_lshrrev_b32_e32 v57, 16, v41
	v_lshrrev_b32_e32 v61, 16, v53
	;; [unrolled: 1-line block ×7, first 2 shown]
	s_waitcnt lgkmcnt(0)
	s_barrier
	buffer_gl0_inv
	s_and_saveexec_b32 s1, s0
	s_cbranch_execz .LBB0_23
; %bb.22:
	v_add_nc_u32_e32 v43, 0x200, v65
	v_add_nc_u32_e32 v44, 0x400, v65
	;; [unrolled: 1-line block ×3, first 2 shown]
	ds_read2_b32 v[41:42], v65 offset1:60
	ds_read2_b32 v[53:54], v65 offset0:120 offset1:180
	v_add_nc_u32_e32 v46, 0xa00, v65
	ds_read2_b32 v[51:52], v43 offset0:112 offset1:172
	v_add_nc_u32_e32 v43, 0x800, v65
	v_add_nc_u32_e32 v57, 0xc00, v65
	ds_read2_b32 v[55:56], v44 offset0:104 offset1:164
	ds_read2_b32 v[49:50], v45 offset0:96 offset1:156
	;; [unrolled: 1-line block ×5, first 2 shown]
	ds_read_b32 v109, v65 offset:3840
	s_waitcnt lgkmcnt(8)
	v_lshrrev_b32_e32 v57, 16, v41
	s_waitcnt lgkmcnt(7)
	v_lshrrev_b32_e32 v61, 16, v53
	;; [unrolled: 2-line block ×3, first 2 shown]
	v_lshrrev_b32_e32 v60, 16, v51
	s_waitcnt lgkmcnt(4)
	v_lshrrev_b32_e32 v83, 16, v49
	s_waitcnt lgkmcnt(3)
	;; [unrolled: 2-line block ×4, first 2 shown]
	v_lshrrev_b32_e32 v111, 16, v43
	v_lshrrev_b32_e32 v112, 16, v44
	s_waitcnt lgkmcnt(0)
	v_lshrrev_b32_e32 v110, 16, v109
.LBB0_23:
	s_or_b32 exec_lo, exec_lo, s1
	v_lshrrev_b32_e32 v59, 16, v42
	v_mul_f16_sdwa v62, v12, v42 dst_sel:DWORD dst_unused:UNUSED_PAD src0_sel:WORD_1 src1_sel:DWORD
	v_mul_f16_sdwa v58, v13, v61 dst_sel:DWORD dst_unused:UNUSED_PAD src0_sel:WORD_1 src1_sel:DWORD
	;; [unrolled: 1-line block ×3, first 2 shown]
	v_lshrrev_b32_e32 v86, 16, v54
	v_mul_f16_sdwa v160, v12, v59 dst_sel:DWORD dst_unused:UNUSED_PAD src0_sel:WORD_1 src1_sel:DWORD
	v_fma_f16 v59, v12, v59, -v62
	v_fmac_f16_e32 v58, v13, v53
	v_fma_f16 v13, v13, v61, -v85
	v_mul_f16_sdwa v53, v14, v86 dst_sel:DWORD dst_unused:UNUSED_PAD src0_sel:WORD_1 src1_sel:DWORD
	v_fmac_f16_e32 v160, v12, v42
	v_mul_f16_sdwa v42, v14, v54 dst_sel:DWORD dst_unused:UNUSED_PAD src0_sel:WORD_1 src1_sel:DWORD
	v_mul_f16_sdwa v12, v15, v60 dst_sel:DWORD dst_unused:UNUSED_PAD src0_sel:WORD_1 src1_sel:DWORD
	v_mul_f16_sdwa v62, v15, v51 dst_sel:DWORD dst_unused:UNUSED_PAD src0_sel:WORD_1 src1_sel:DWORD
	v_lshrrev_b32_e32 v85, 16, v52
	v_fmac_f16_e32 v53, v14, v54
	v_fma_f16 v61, v14, v86, -v42
	v_fmac_f16_e32 v12, v15, v51
	v_fma_f16 v51, v15, v60, -v62
	v_mul_f16_sdwa v54, v8, v85 dst_sel:DWORD dst_unused:UNUSED_PAD src0_sel:WORD_1 src1_sel:DWORD
	v_mul_f16_sdwa v14, v8, v52 dst_sel:DWORD dst_unused:UNUSED_PAD src0_sel:WORD_1 src1_sel:DWORD
	v_mul_f16_sdwa v60, v9, v84 dst_sel:DWORD dst_unused:UNUSED_PAD src0_sel:WORD_1 src1_sel:DWORD
	v_mul_f16_sdwa v15, v9, v55 dst_sel:DWORD dst_unused:UNUSED_PAD src0_sel:WORD_1 src1_sel:DWORD
	v_lshrrev_b32_e32 v42, 16, v56
	v_fmac_f16_e32 v54, v8, v52
	v_fma_f16 v62, v8, v85, -v14
	v_fmac_f16_e32 v60, v9, v55
	v_fma_f16 v8, v9, v84, -v15
	v_mul_f16_sdwa v9, v10, v42 dst_sel:DWORD dst_unused:UNUSED_PAD src0_sel:WORD_1 src1_sel:DWORD
	;; [unrolled: 9-line block ×3, first 2 shown]
	v_lshrrev_b32_e32 v14, 16, v48
	v_mul_f16_sdwa v15, v4, v50 dst_sel:DWORD dst_unused:UNUSED_PAD src0_sel:WORD_1 src1_sel:DWORD
	v_mul_f16_sdwa v56, v5, v64 dst_sel:DWORD dst_unused:UNUSED_PAD src0_sel:WORD_1 src1_sel:DWORD
	;; [unrolled: 1-line block ×3, first 2 shown]
	v_fmac_f16_e32 v11, v4, v50
	v_mul_f16_sdwa v49, v6, v14 dst_sel:DWORD dst_unused:UNUSED_PAD src0_sel:WORD_1 src1_sel:DWORD
	v_fma_f16 v50, v4, v84, -v15
	v_mul_f16_sdwa v4, v6, v48 dst_sel:DWORD dst_unused:UNUSED_PAD src0_sel:WORD_1 src1_sel:DWORD
	v_fmac_f16_e32 v56, v5, v47
	v_fma_f16 v47, v5, v64, -v42
	v_fmac_f16_e32 v49, v6, v48
	v_mul_f16_sdwa v48, v7, v63 dst_sel:DWORD dst_unused:UNUSED_PAD src0_sel:WORD_1 src1_sel:DWORD
	v_mul_f16_sdwa v5, v7, v45 dst_sel:DWORD dst_unused:UNUSED_PAD src0_sel:WORD_1 src1_sel:DWORD
	v_lshrrev_b32_e32 v15, 16, v46
	v_fma_f16 v6, v6, v14, -v4
	v_mul_f16_sdwa v4, v3, v109 dst_sel:DWORD dst_unused:UNUSED_PAD src0_sel:WORD_1 src1_sel:DWORD
	v_fmac_f16_e32 v48, v7, v45
	v_fma_f16 v7, v7, v63, -v5
	v_mul_f16_sdwa v63, v0, v15 dst_sel:DWORD dst_unused:UNUSED_PAD src0_sel:WORD_1 src1_sel:DWORD
	v_mul_f16_sdwa v5, v3, v110 dst_sel:DWORD dst_unused:UNUSED_PAD src0_sel:WORD_1 src1_sel:DWORD
	v_fma_f16 v4, v3, v110, -v4
	v_mul_f16_sdwa v14, v0, v46 dst_sel:DWORD dst_unused:UNUSED_PAD src0_sel:WORD_1 src1_sel:DWORD
	v_mul_f16_sdwa v45, v1, v111 dst_sel:DWORD dst_unused:UNUSED_PAD src0_sel:WORD_1 src1_sel:DWORD
	v_fmac_f16_e32 v63, v0, v46
	v_fmac_f16_e32 v5, v3, v109
	v_sub_f16_e32 v162, v59, v4
	v_fma_f16 v3, v0, v15, -v14
	v_mul_f16_sdwa v0, v2, v44 dst_sel:DWORD dst_unused:UNUSED_PAD src0_sel:WORD_1 src1_sel:DWORD
	v_add_f16_e32 v87, v4, v59
	v_add_f16_e32 v161, v5, v160
	v_mul_f16_e32 v163, 0xb964, v162
	v_mul_f16_sdwa v46, v2, v112 dst_sel:DWORD dst_unused:UNUSED_PAD src0_sel:WORD_1 src1_sel:DWORD
	v_fma_f16 v0, v2, v112, -v0
	v_mul_f16_sdwa v14, v1, v43 dst_sel:DWORD dst_unused:UNUSED_PAD src0_sel:WORD_1 src1_sel:DWORD
	v_sub_f16_e32 v64, v160, v5
	v_fma_f16 v15, v161, 0x39e9, -v163
	v_mul_f16_e32 v119, 0x39e9, v87
	v_fmac_f16_e32 v46, v2, v44
	v_sub_f16_e32 v86, v13, v0
	v_add_f16_e32 v113, v0, v13
	v_fmac_f16_e32 v45, v1, v43
	v_fma_f16 v1, v1, v111, -v14
	v_add_f16_e32 v14, v41, v15
	v_fmamk_f16 v15, v64, 0xb964, v119
	v_mul_f16_e32 v164, 0xbb29, v162
	v_mul_f16_e32 v136, 0x3722, v87
	v_add_f16_e32 v2, v46, v58
	v_mul_f16_e32 v120, 0xbbf7, v86
	v_sub_f16_e32 v44, v58, v46
	v_mul_f16_e32 v127, 0x2de8, v113
	v_add_f16_e32 v15, v57, v15
	v_fma_f16 v42, v161, 0x3722, -v164
	v_fmamk_f16 v43, v64, 0xbb29, v136
	v_fma_f16 v83, v2, 0x2de8, -v120
	v_sub_f16_e32 v109, v61, v1
	v_fmamk_f16 v84, v44, 0xbbf7, v127
	v_mul_f16_e32 v137, 0xba62, v86
	v_mul_f16_e32 v142, 0xb8d2, v113
	v_add_f16_e32 v117, v1, v61
	v_add_f16_e32 v42, v41, v42
	;; [unrolled: 1-line block ×5, first 2 shown]
	v_mul_f16_e32 v125, 0xba62, v109
	v_add_f16_e32 v15, v84, v15
	v_fma_f16 v85, v2, 0xb8d2, -v137
	v_fmamk_f16 v88, v44, 0xba62, v142
	v_sub_f16_e32 v84, v53, v45
	v_mul_f16_e32 v130, 0xb8d2, v117
	v_sub_f16_e32 v114, v51, v3
	v_fma_f16 v110, v83, 0xb8d2, -v125
	v_add_f16_e32 v42, v85, v42
	v_add_f16_e32 v43, v88, v43
	v_fmamk_f16 v88, v84, 0xba62, v130
	v_mul_f16_e32 v143, 0x31e1, v109
	v_mul_f16_e32 v147, 0xbbdd, v117
	v_add_f16_e32 v85, v63, v12
	v_mul_f16_e32 v131, 0xb1e1, v114
	v_add_f16_e32 v122, v3, v51
	v_add_f16_e32 v14, v110, v14
	;; [unrolled: 1-line block ×3, first 2 shown]
	v_fma_f16 v110, v83, 0xbbdd, -v143
	v_fmamk_f16 v111, v84, 0x31e1, v147
	v_fma_f16 v112, v85, 0xbbdd, -v131
	v_sub_f16_e32 v88, v12, v63
	v_mul_f16_e32 v134, 0xbbdd, v122
	v_sub_f16_e32 v118, v62, v7
	v_mul_f16_e32 v148, 0x3bb2, v114
	v_mul_f16_e32 v152, 0xb461, v122
	v_add_f16_e32 v128, v7, v62
	v_add_f16_e32 v42, v110, v42
	;; [unrolled: 1-line block ×4, first 2 shown]
	v_fmamk_f16 v112, v88, 0xb1e1, v134
	v_add_f16_e32 v110, v48, v54
	v_mul_f16_e32 v135, 0x3836, v118
	v_fma_f16 v115, v85, 0xb461, -v148
	v_fmamk_f16 v116, v88, 0x3bb2, v152
	v_sub_f16_e32 v111, v54, v48
	v_mul_f16_e32 v140, 0xbacd, v128
	v_add_f16_e32 v132, v6, v8
	v_fma_f16 v121, v110, 0xbacd, -v135
	v_add_f16_e32 v15, v112, v15
	v_add_f16_e32 v42, v115, v42
	;; [unrolled: 1-line block ×3, first 2 shown]
	v_fmamk_f16 v116, v111, 0x3836, v140
	v_sub_f16_e32 v124, v8, v6
	v_mul_f16_e32 v151, 0x3964, v118
	v_mul_f16_e32 v154, 0x39e9, v128
	v_sub_f16_e32 v115, v60, v49
	v_mul_f16_e32 v144, 0xb461, v132
	v_add_f16_e32 v14, v121, v14
	v_add_f16_e32 v112, v49, v60
	v_mul_f16_e32 v141, 0x3bb2, v124
	v_fma_f16 v121, v110, 0x39e9, -v151
	v_fmamk_f16 v123, v111, 0x3964, v154
	v_add_f16_e32 v15, v116, v15
	v_fmamk_f16 v116, v115, 0x3bb2, v144
	v_mul_f16_e32 v153, 0xb5c8, v124
	v_sub_f16_e32 v129, v55, v47
	v_fma_f16 v126, v112, 0xb461, -v141
	v_add_f16_e32 v42, v121, v42
	v_add_f16_e32 v43, v123, v43
	;; [unrolled: 1-line block ×4, first 2 shown]
	v_fma_f16 v123, v112, 0x3b76, -v153
	v_add_f16_e32 v116, v56, v9
	v_mul_f16_e32 v145, 0x3b29, v129
	v_mul_f16_e32 v155, 0xbbf7, v129
	v_add_f16_e32 v14, v126, v14
	v_mul_f16_e32 v156, 0x3b76, v132
	v_sub_f16_e32 v121, v9, v56
	v_mul_f16_e32 v146, 0x3722, v138
	v_fma_f16 v133, v116, 0x3722, -v145
	v_add_f16_e32 v42, v123, v42
	v_fma_f16 v139, v116, 0x2de8, -v155
	v_fmamk_f16 v126, v115, 0xb5c8, v156
	v_fmamk_f16 v123, v121, 0x3b29, v146
	v_add_f16_e32 v14, v133, v14
	v_mul_f16_e32 v158, 0x2de8, v138
	v_add_f16_e32 v165, v139, v42
	v_sub_f16_e32 v133, v10, v50
	v_add_f16_e32 v139, v50, v10
	v_add_f16_e32 v43, v126, v43
	;; [unrolled: 1-line block ×3, first 2 shown]
	v_fmamk_f16 v42, v121, 0xbbf7, v158
	v_add_f16_e32 v123, v11, v52
	v_sub_f16_e32 v126, v52, v11
	v_mul_f16_e32 v149, 0x35c8, v133
	v_mul_f16_e32 v150, 0x3b76, v139
	;; [unrolled: 1-line block ×4, first 2 shown]
	v_add_f16_e32 v166, v42, v43
	v_fma_f16 v42, v123, 0x3b76, -v149
	v_fmamk_f16 v43, v126, 0x35c8, v150
	v_fma_f16 v167, v123, 0xbacd, -v157
	v_fmamk_f16 v168, v126, 0xb836, v159
	v_add_f16_e32 v42, v42, v14
	v_add_f16_e32 v43, v43, v15
	v_add_f16_e32 v14, v167, v165
	v_add_f16_e32 v15, v168, v166
	s_barrier
	buffer_gl0_inv
	s_and_saveexec_b32 s1, s0
	s_cbranch_execz .LBB0_25
; %bb.24:
	v_mul_f16_e32 v165, 0x3722, v161
	v_mul_f16_e32 v167, 0xb836, v162
	;; [unrolled: 1-line block ×5, first 2 shown]
	v_add_f16_e32 v164, v165, v164
	v_mul_f16_e32 v165, 0x39e9, v161
	v_fma_f16 v168, v161, 0xbacd, -v167
	v_fmac_f16_e32 v167, 0xbacd, v161
	v_fma_f16 v170, v161, 0xb8d2, -v169
	v_fmac_f16_e32 v169, 0xb8d2, v161
	v_add_f16_e32 v163, v165, v163
	v_mul_f16_e32 v165, 0xb1e1, v162
	v_mul_f16_e32 v162, 0xb5c8, v162
	v_fma_f16 v173, v161, 0xb461, -v171
	v_fmac_f16_e32 v171, 0xb461, v161
	v_fma_f16 v174, v161, 0x2de8, -v172
	v_fma_f16 v166, v161, 0xbbdd, -v165
	v_fmac_f16_e32 v165, 0xbbdd, v161
	v_fmac_f16_e32 v172, 0x2de8, v161
	v_fmamk_f16 v175, v161, 0x3b76, v162
	v_fma_f16 v161, v161, 0x3b76, -v162
	v_mul_f16_e32 v176, 0xbbf7, v64
	v_add_f16_e32 v162, v41, v174
	v_add_f16_e32 v173, v41, v173
	v_add_f16_e32 v170, v41, v170
	v_add_f16_e32 v168, v41, v168
	v_add_f16_e32 v166, v41, v166
	v_add_f16_e32 v165, v41, v165
	v_add_f16_e32 v167, v41, v167
	v_add_f16_e32 v169, v41, v169
	v_add_f16_e32 v171, v41, v171
	v_add_f16_e32 v172, v41, v172
	v_add_f16_e32 v164, v41, v164
	v_add_f16_e32 v163, v41, v163
	v_add_f16_e32 v174, v41, v160
	v_add_f16_e32 v175, v41, v175
	v_add_f16_e32 v161, v41, v161
	v_fmamk_f16 v41, v87, 0x2de8, v176
	v_mul_f16_e32 v177, 0xb1e1, v44
	v_mul_f16_e32 v178, 0x3bb2, v84
	v_mul_f16_e32 v179, 0x35c8, v88
	v_mul_f16_e32 v180, 0xb1e1, v86
	v_add_f16_e32 v41, v57, v41
	v_fmamk_f16 v160, v113, 0xbbdd, v177
	v_mul_f16_e32 v181, 0xbb29, v111
	v_mul_f16_e32 v182, 0x3bb2, v109
	v_mul_f16_e32 v183, 0xb836, v115
	v_mul_f16_e32 v184, 0x35c8, v114
	v_add_f16_e32 v41, v160, v41
	;; [unrolled: 6-line block ×4, first 2 shown]
	v_fma_f16 v160, v2, 0xbbdd, -v180
	v_mul_f16_e32 v223, 0x3b29, v44
	v_fmamk_f16 v192, v113, 0xbacd, v191
	v_fmamk_f16 v208, v113, 0xb461, v207
	v_fma_f16 v191, v113, 0xbacd, -v191
	v_add_f16_e32 v160, v160, v162
	v_fmamk_f16 v162, v128, 0x3722, v181
	v_fmamk_f16 v224, v113, 0x3722, v223
	v_mul_f16_e32 v239, 0x35c8, v44
	v_fma_f16 v176, v87, 0x2de8, -v176
	v_fma_f16 v177, v113, 0xbbdd, -v177
	v_add_f16_e32 v41, v162, v41
	v_fma_f16 v162, v83, 0xb461, -v182
	v_fmamk_f16 v240, v113, 0x3b76, v239
	v_add_f16_e32 v176, v57, v176
	v_fma_f16 v178, v117, 0xb461, -v178
	v_fma_f16 v239, v113, 0x3b76, -v239
	v_add_f16_e32 v160, v162, v160
	v_fmamk_f16 v162, v132, 0xbacd, v183
	v_add_f16_e32 v176, v177, v176
	v_add_f16_e32 v58, v58, v174
	v_fma_f16 v223, v113, 0x3722, -v223
	v_fma_f16 v207, v113, 0xb461, -v207
	v_add_f16_e32 v41, v162, v41
	v_fma_f16 v162, v85, 0x3b76, -v184
	v_add_f16_e32 v176, v178, v176
	v_add_f16_e32 v53, v53, v58
	;; [unrolled: 1-line block ×3, first 2 shown]
	v_mul_f16_e32 v113, 0x39e9, v113
	v_add_f16_e32 v160, v162, v160
	v_fmamk_f16 v162, v138, 0xb8d2, v185
	v_add_f16_e32 v12, v12, v53
	v_add_f16_e32 v13, v13, v58
	v_mul_f16_e32 v58, 0xb964, v86
	v_fmac_f16_e32 v180, 0xbbdd, v2
	v_add_f16_e32 v41, v162, v41
	v_fma_f16 v162, v110, 0x3722, -v186
	v_add_f16_e32 v13, v61, v13
	v_fmamk_f16 v59, v2, 0x39e9, v58
	v_add_f16_e32 v12, v54, v12
	v_add_f16_e32 v172, v180, v172
	;; [unrolled: 1-line block ×3, first 2 shown]
	v_fmamk_f16 v162, v139, 0x39e9, v187
	v_add_f16_e32 v13, v51, v13
	v_mul_f16_e32 v51, 0xbb29, v109
	v_add_f16_e32 v59, v59, v175
	v_add_f16_e32 v12, v60, v12
	;; [unrolled: 1-line block ×3, first 2 shown]
	v_fma_f16 v162, v112, 0xbacd, -v188
	v_fmamk_f16 v54, v83, 0x3722, v51
	v_add_f16_e32 v13, v62, v13
	v_add_f16_e32 v9, v9, v12
	v_mul_f16_e32 v12, 0xbbb2, v118
	v_add_f16_e32 v160, v162, v160
	v_fma_f16 v162, v116, 0xb8d2, -v189
	v_add_f16_e32 v54, v54, v59
	v_mul_f16_e32 v59, 0xbbf7, v114
	v_add_f16_e32 v8, v8, v13
	v_add_f16_e32 v9, v52, v9
	;; [unrolled: 1-line block ×3, first 2 shown]
	v_fmamk_f16 v162, v87, 0xb461, v190
	v_fma_f16 v190, v87, 0xb461, -v190
	v_fmamk_f16 v60, v85, 0x2de8, v59
	v_add_f16_e32 v8, v55, v8
	v_fmamk_f16 v13, v110, 0xb461, v12
	v_add_f16_e32 v162, v57, v162
	v_add_f16_e32 v190, v57, v190
	;; [unrolled: 1-line block ×4, first 2 shown]
	v_mul_f16_e32 v10, 0xba62, v124
	v_add_f16_e32 v162, v192, v162
	v_mul_f16_e32 v192, 0x3964, v133
	v_add_f16_e32 v190, v191, v190
	v_add_f16_e32 v9, v11, v9
	;; [unrolled: 1-line block ×3, first 2 shown]
	v_fmamk_f16 v11, v112, 0xb8d2, v10
	v_fma_f16 v193, v123, 0x39e9, -v192
	v_add_f16_e32 v8, v50, v8
	v_add_f16_e32 v9, v56, v9
	v_fmac_f16_e32 v182, 0xb461, v83
	v_add_f16_e32 v11, v11, v13
	v_add_f16_e32 v160, v193, v160
	v_mul_f16_e32 v193, 0x3964, v84
	v_add_f16_e32 v9, v49, v9
	v_add_f16_e32 v8, v47, v8
	;; [unrolled: 1-line block ×3, first 2 shown]
	v_fmac_f16_e32 v184, 0x3b76, v85
	v_fmamk_f16 v194, v117, 0x39e9, v193
	v_fma_f16 v191, v117, 0x39e9, -v193
	v_add_f16_e32 v9, v48, v9
	v_add_f16_e32 v6, v6, v8
	v_fmac_f16_e32 v186, 0x3722, v110
	v_add_f16_e32 v162, v194, v162
	v_mul_f16_e32 v194, 0xbb29, v88
	v_add_f16_e32 v190, v191, v190
	v_add_f16_e32 v9, v63, v9
	;; [unrolled: 1-line block ×3, first 2 shown]
	v_mul_f16_e32 v53, 0xbacd, v138
	v_fmamk_f16 v195, v122, 0x3722, v194
	v_fma_f16 v191, v122, 0x3722, -v194
	v_fmac_f16_e32 v188, 0xbacd, v112
	v_add_f16_e32 v3, v3, v6
	v_fmamk_f16 v61, v121, 0x3836, v53
	v_add_f16_e32 v162, v195, v162
	v_mul_f16_e32 v195, 0x3836, v86
	v_add_f16_e32 v190, v191, v190
	v_mul_f16_e32 v52, 0xbbdd, v139
	v_mul_f16_e32 v47, 0xb1e1, v133
	v_add_f16_e32 v1, v1, v3
	v_fma_f16 v196, v2, 0xbacd, -v195
	v_fmac_f16_e32 v195, 0xbacd, v2
	v_fmac_f16_e32 v53, 0xb836, v121
	;; [unrolled: 1-line block ×3, first 2 shown]
	v_fmamk_f16 v54, v126, 0x31e1, v52
	v_add_f16_e32 v173, v196, v173
	v_mul_f16_e32 v196, 0xb1e1, v111
	v_add_f16_e32 v171, v195, v171
	v_fmamk_f16 v49, v123, 0xbbdd, v47
	v_add_f16_e32 v0, v0, v1
	v_fmac_f16_e32 v192, 0x39e9, v123
	v_fmamk_f16 v197, v128, 0xbbdd, v196
	v_fma_f16 v191, v128, 0xbbdd, -v196
	v_fmac_f16_e32 v52, 0xb1e1, v126
	v_add_f16_e32 v0, v4, v0
	v_fma_f16 v4, v123, 0xbbdd, -v47
	v_add_f16_e32 v162, v197, v162
	v_mul_f16_e32 v197, 0x3964, v109
	v_add_f16_e32 v190, v191, v190
	v_fma_f16 v198, v83, 0x39e9, -v197
	v_fmac_f16_e32 v197, 0x39e9, v83
	v_add_f16_e32 v173, v198, v173
	v_mul_f16_e32 v198, 0x3bf7, v115
	v_add_f16_e32 v171, v197, v171
	v_fmamk_f16 v199, v132, 0x2de8, v198
	v_fma_f16 v191, v132, 0x2de8, -v198
	v_add_f16_e32 v162, v199, v162
	v_mul_f16_e32 v199, 0xbb29, v114
	v_add_f16_e32 v190, v191, v190
	v_fma_f16 v200, v85, 0x3722, -v199
	v_fmac_f16_e32 v199, 0x3722, v85
	v_add_f16_e32 v173, v200, v173
	v_mul_f16_e32 v200, 0xb5c8, v121
	v_add_f16_e32 v171, v199, v171
	v_fmamk_f16 v201, v138, 0x3b76, v200
	;; [unrolled: 10-line block ×3, first 2 shown]
	v_fma_f16 v178, v139, 0xb8d2, -v202
	v_add_f16_e32 v162, v203, v162
	v_mul_f16_e32 v203, 0x3bf7, v124
	v_add_f16_e32 v177, v178, v177
	v_fma_f16 v178, v122, 0x3b76, -v179
	v_fma_f16 v204, v112, 0x2de8, -v203
	v_fmac_f16_e32 v203, 0x2de8, v112
	v_add_f16_e32 v176, v178, v176
	v_fma_f16 v178, v128, 0x3722, -v181
	v_add_f16_e32 v173, v204, v173
	v_mul_f16_e32 v204, 0xb5c8, v129
	v_add_f16_e32 v171, v203, v171
	v_add_f16_e32 v176, v178, v176
	v_mul_f16_e32 v178, 0xbb29, v64
	v_fma_f16 v205, v116, 0x3b76, -v204
	v_fmac_f16_e32 v204, 0x3b76, v116
	v_sub_f16_e32 v136, v136, v178
	v_fma_f16 v178, v132, 0xbacd, -v183
	v_add_f16_e32 v173, v205, v173
	v_mul_f16_e32 v205, 0xba62, v64
	v_add_f16_e32 v171, v204, v171
	v_add_f16_e32 v136, v57, v136
	;; [unrolled: 1-line block ×3, first 2 shown]
	v_mul_f16_e32 v178, 0xba62, v44
	v_fmamk_f16 v206, v87, 0xb8d2, v205
	v_fma_f16 v205, v87, 0xb8d2, -v205
	v_sub_f16_e32 v142, v142, v178
	v_add_f16_e32 v206, v57, v206
	v_add_f16_e32 v205, v57, v205
	v_fma_f16 v178, v138, 0xb8d2, -v185
	v_add_f16_e32 v136, v142, v136
	v_add_f16_e32 v206, v208, v206
	v_mul_f16_e32 v208, 0xba62, v133
	v_mul_f16_e32 v142, 0x31e1, v84
	v_add_f16_e32 v205, v207, v205
	v_add_f16_e32 v176, v178, v176
	v_fma_f16 v209, v123, 0xb8d2, -v208
	v_sub_f16_e32 v142, v147, v142
	v_add_f16_e32 v147, v184, v172
	v_fmac_f16_e32 v208, 0xb8d2, v123
	v_fma_f16 v172, v139, 0x39e9, -v187
	v_add_f16_e32 v173, v209, v173
	v_mul_f16_e32 v209, 0xb5c8, v84
	v_add_f16_e32 v136, v142, v136
	v_mul_f16_e32 v142, 0x3bb2, v88
	v_add_f16_e32 v147, v186, v147
	v_add_f16_e32 v171, v208, v171
	v_fmamk_f16 v210, v117, 0x3b76, v209
	v_fma_f16 v209, v117, 0x3b76, -v209
	v_sub_f16_e32 v142, v152, v142
	v_mul_f16_e32 v152, 0xb8d2, v2
	v_add_f16_e32 v147, v188, v147
	v_add_f16_e32 v206, v210, v206
	v_mul_f16_e32 v210, 0xb836, v88
	v_add_f16_e32 v136, v142, v136
	v_add_f16_e32 v137, v152, v137
	v_mul_f16_e32 v152, 0xbbdd, v83
	v_mul_f16_e32 v142, 0x3964, v111
	v_fmamk_f16 v211, v122, 0xbacd, v210
	v_add_f16_e32 v205, v209, v205
	v_add_f16_e32 v137, v137, v164
	;; [unrolled: 1-line block ×3, first 2 shown]
	v_sub_f16_e32 v142, v154, v142
	v_add_f16_e32 v206, v211, v206
	v_mul_f16_e32 v211, 0x3bb2, v86
	v_fma_f16 v209, v122, 0xbacd, -v210
	v_add_f16_e32 v137, v143, v137
	v_mul_f16_e32 v143, 0xb461, v85
	v_add_f16_e32 v136, v142, v136
	v_fma_f16 v212, v2, 0xb461, -v211
	v_mul_f16_e32 v142, 0xb5c8, v115
	v_fmac_f16_e32 v211, 0xb461, v2
	v_add_f16_e32 v143, v143, v148
	v_mul_f16_e32 v148, 0xb964, v64
	v_add_f16_e32 v170, v212, v170
	v_mul_f16_e32 v212, 0x3bf7, v111
	v_sub_f16_e32 v142, v156, v142
	v_add_f16_e32 v137, v143, v137
	v_mul_f16_e32 v143, 0x39e9, v110
	v_sub_f16_e32 v119, v119, v148
	v_fmamk_f16 v213, v128, 0x2de8, v212
	v_mul_f16_e32 v148, 0xbbf7, v44
	v_add_f16_e32 v136, v142, v136
	v_add_f16_e32 v143, v143, v151
	;; [unrolled: 1-line block ×4, first 2 shown]
	v_mul_f16_e32 v213, 0xb5c8, v109
	v_sub_f16_e32 v127, v127, v148
	v_add_f16_e32 v137, v143, v137
	v_mul_f16_e32 v143, 0x3b76, v112
	v_mul_f16_e32 v142, 0xbbf7, v121
	v_fma_f16 v214, v83, 0x3b76, -v213
	v_add_f16_e32 v119, v127, v119
	v_mul_f16_e32 v127, 0xba62, v84
	v_add_f16_e32 v143, v143, v153
	v_sub_f16_e32 v142, v158, v142
	v_add_f16_e32 v170, v214, v170
	v_mul_f16_e32 v214, 0xb964, v115
	v_sub_f16_e32 v127, v130, v127
	v_add_f16_e32 v130, v143, v137
	v_mul_f16_e32 v137, 0x2de8, v116
	v_mul_f16_e32 v143, 0x2de8, v2
	v_fmamk_f16 v215, v132, 0x39e9, v214
	v_add_f16_e32 v119, v127, v119
	v_mul_f16_e32 v127, 0xb1e1, v88
	v_add_f16_e32 v137, v137, v155
	v_add_f16_e32 v120, v143, v120
	;; [unrolled: 1-line block ×3, first 2 shown]
	v_mul_f16_e32 v215, 0xb836, v114
	v_sub_f16_e32 v127, v134, v127
	v_add_f16_e32 v130, v137, v130
	v_mul_f16_e32 v137, 0xb8d2, v83
	v_add_f16_e32 v120, v120, v163
	v_fma_f16 v216, v85, 0xbacd, -v215
	v_add_f16_e32 v119, v127, v119
	v_mul_f16_e32 v127, 0x3836, v111
	v_add_f16_e32 v125, v137, v125
	v_mul_f16_e32 v134, 0xbacd, v123
	;; [unrolled: 2-line block ×3, first 2 shown]
	v_sub_f16_e32 v127, v140, v127
	v_add_f16_e32 v120, v125, v120
	v_mul_f16_e32 v125, 0xbbdd, v85
	v_add_f16_e32 v136, v142, v136
	v_fmamk_f16 v217, v138, 0xbbdd, v216
	v_add_f16_e32 v119, v127, v119
	v_mul_f16_e32 v127, 0x3bb2, v115
	v_add_f16_e32 v125, v125, v131
	v_mul_f16_e32 v142, 0xb836, v126
	;; [unrolled: 2-line block ×3, first 2 shown]
	v_sub_f16_e32 v127, v144, v127
	v_add_f16_e32 v120, v125, v120
	v_mul_f16_e32 v125, 0xbacd, v110
	v_add_f16_e32 v134, v134, v157
	v_fma_f16 v218, v110, 0x2de8, -v217
	v_add_f16_e32 v119, v127, v119
	v_sub_f16_e32 v142, v159, v142
	v_add_f16_e32 v125, v125, v135
	v_add_f16_e32 v130, v134, v130
	;; [unrolled: 1-line block ×3, first 2 shown]
	v_mul_f16_e32 v218, 0x3b29, v126
	v_fmamk_f16 v134, v44, 0x3964, v113
	v_add_f16_e32 v120, v125, v120
	v_mul_f16_e32 v125, 0xb461, v112
	v_add_f16_e32 v135, v142, v136
	v_fmamk_f16 v219, v139, 0x3722, v218
	v_fmac_f16_e32 v113, 0xb964, v44
	v_add_f16_e32 v169, v211, v169
	v_add_f16_e32 v125, v125, v141
	v_fmac_f16_e32 v213, 0x3b76, v83
	v_add_f16_e32 v206, v219, v206
	v_mul_f16_e32 v219, 0xb964, v124
	v_add_f16_e32 v205, v209, v205
	v_add_f16_e32 v120, v125, v120
	v_mul_f16_e32 v125, 0x3722, v116
	v_fma_f16 v209, v128, 0x2de8, -v212
	v_fma_f16 v220, v112, 0x39e9, -v219
	v_add_f16_e32 v169, v213, v169
	v_fmac_f16_e32 v215, 0xbacd, v85
	v_add_f16_e32 v125, v125, v145
	v_fmac_f16_e32 v217, 0x2de8, v110
	v_add_f16_e32 v170, v220, v170
	v_mul_f16_e32 v220, 0xb1e1, v129
	v_add_f16_e32 v169, v215, v169
	v_add_f16_e32 v120, v125, v120
	;; [unrolled: 1-line block ×3, first 2 shown]
	v_fma_f16 v209, v132, 0x39e9, -v214
	v_fma_f16 v221, v116, 0xbbdd, -v220
	v_mul_f16_e32 v44, 0xb836, v129
	v_add_f16_e32 v169, v217, v169
	v_fmac_f16_e32 v219, 0x39e9, v112
	v_add_f16_e32 v205, v209, v205
	v_add_f16_e32 v170, v221, v170
	v_mul_f16_e32 v221, 0xb836, v64
	v_fmamk_f16 v50, v116, 0xbacd, v44
	v_fma_f16 v209, v138, 0xbbdd, -v216
	v_add_f16_e32 v169, v219, v169
	v_fmac_f16_e32 v220, 0xbbdd, v116
	v_fmamk_f16 v222, v87, 0xbacd, v221
	v_fma_f16 v221, v87, 0xbacd, -v221
	v_add_f16_e32 v11, v50, v11
	v_add_f16_e32 v147, v189, v147
	;; [unrolled: 1-line block ×5, first 2 shown]
	v_fma_f16 v209, v139, 0x3722, -v218
	v_add_f16_e32 v169, v220, v169
	v_add_f16_e32 v11, v49, v11
	;; [unrolled: 1-line block ×3, first 2 shown]
	v_mul_f16_e32 v224, 0x3b29, v133
	v_add_f16_e32 v221, v223, v221
	v_add_f16_e32 v172, v172, v176
	;; [unrolled: 1-line block ×4, first 2 shown]
	v_fma_f16 v225, v123, 0x3722, -v224
	v_fmac_f16_e32 v224, 0x3722, v123
	v_add_f16_e32 v170, v225, v170
	v_mul_f16_e32 v225, 0xbbf7, v84
	v_add_f16_e32 v169, v224, v169
	v_fmamk_f16 v226, v117, 0x2de8, v225
	v_fma_f16 v225, v117, 0x2de8, -v225
	v_add_f16_e32 v222, v226, v222
	v_mul_f16_e32 v226, 0x3a62, v88
	v_add_f16_e32 v221, v225, v221
	v_fmamk_f16 v227, v122, 0xb8d2, v226
	v_add_f16_e32 v222, v227, v222
	v_mul_f16_e32 v227, 0x3b29, v86
	v_fma_f16 v228, v2, 0x3722, -v227
	v_fmac_f16_e32 v227, 0x3722, v2
	v_add_f16_e32 v168, v228, v168
	v_mul_f16_e32 v228, 0xb5c8, v111
	v_add_f16_e32 v167, v227, v167
	v_fmamk_f16 v229, v128, 0x3b76, v228
	v_add_f16_e32 v222, v229, v222
	v_mul_f16_e32 v229, 0xbbf7, v109
	v_fma_f16 v230, v83, 0x2de8, -v229
	v_fmac_f16_e32 v229, 0x2de8, v83
	;; [unrolled: 8-line block ×4, first 2 shown]
	v_add_f16_e32 v168, v234, v168
	v_mul_f16_e32 v234, 0xbbb2, v126
	v_add_f16_e32 v167, v233, v167
	v_fmamk_f16 v235, v139, 0xb461, v234
	v_fma_f16 v207, v139, 0xb461, -v234
	v_add_f16_e32 v222, v235, v222
	v_mul_f16_e32 v235, 0xb1e1, v124
	v_fma_f16 v236, v112, 0xbbdd, -v235
	v_fmac_f16_e32 v235, 0xbbdd, v112
	v_add_f16_e32 v168, v236, v168
	v_mul_f16_e32 v236, 0x3964, v129
	v_add_f16_e32 v167, v235, v167
	v_fma_f16 v237, v116, 0x39e9, -v236
	v_fmac_f16_e32 v236, 0x39e9, v116
	v_add_f16_e32 v168, v237, v168
	v_mul_f16_e32 v237, 0xb1e1, v64
	v_add_f16_e32 v167, v236, v167
	v_fmamk_f16 v238, v87, 0xbbdd, v237
	v_fma_f16 v237, v87, 0xbbdd, -v237
	v_mul_f16_e32 v87, 0x3b76, v87
	v_add_f16_e32 v238, v57, v238
	v_add_f16_e32 v237, v57, v237
	v_fmamk_f16 v127, v64, 0x35c8, v87
	v_fmac_f16_e32 v87, 0xb5c8, v64
	v_add_f16_e32 v238, v240, v238
	v_mul_f16_e32 v240, 0xbbb2, v133
	v_add_f16_e32 v237, v239, v237
	v_add_f16_e32 v127, v57, v127
	;; [unrolled: 1-line block ×3, first 2 shown]
	v_fma_f16 v241, v123, 0xb461, -v240
	v_fmac_f16_e32 v240, 0xb461, v123
	v_add_f16_e32 v127, v134, v127
	v_mul_f16_e32 v134, 0x3b29, v121
	v_add_f16_e32 v13, v113, v13
	v_add_f16_e32 v168, v241, v168
	v_mul_f16_e32 v241, 0xb836, v84
	v_add_f16_e32 v167, v240, v167
	v_sub_f16_e32 v134, v146, v134
	v_fmamk_f16 v242, v117, 0xbacd, v241
	v_fma_f16 v239, v117, 0xbacd, -v241
	v_mul_f16_e32 v117, 0x3722, v117
	v_add_f16_e32 v119, v134, v119
	v_mul_f16_e32 v134, 0x35c8, v126
	v_add_f16_e32 v238, v242, v238
	;; [unrolled: 2-line block ×3, first 2 shown]
	v_mul_f16_e32 v239, 0xbbb2, v129
	v_fmamk_f16 v136, v84, 0x3b29, v117
	v_fmac_f16_e32 v117, 0xbb29, v84
	v_fmamk_f16 v243, v122, 0x39e9, v242
	v_sub_f16_e32 v134, v150, v134
	v_fma_f16 v241, v116, 0xb461, -v239
	v_add_f16_e32 v127, v136, v127
	v_add_f16_e32 v8, v117, v13
	;; [unrolled: 1-line block ×3, first 2 shown]
	v_mul_f16_e32 v243, 0x35c8, v86
	v_fma_f16 v13, v83, 0x3722, -v51
	v_add_f16_e32 v119, v134, v119
	v_fmac_f16_e32 v239, 0xb461, v116
	v_fma_f16 v244, v2, 0x3b76, -v243
	v_fmac_f16_e32 v243, 0x3b76, v2
	v_fma_f16 v2, v2, 0x39e9, -v58
	v_add_f16_e32 v166, v244, v166
	v_mul_f16_e32 v244, 0xba62, v111
	v_add_f16_e32 v165, v243, v165
	v_add_f16_e32 v2, v2, v161
	v_fmamk_f16 v245, v128, 0xb8d2, v244
	v_add_f16_e32 v2, v13, v2
	v_add_f16_e32 v238, v245, v238
	v_mul_f16_e32 v245, 0xb836, v109
	v_fma_f16 v246, v83, 0xbacd, -v245
	v_fmac_f16_e32 v245, 0xbacd, v83
	v_add_f16_e32 v166, v246, v166
	v_mul_f16_e32 v246, 0x3b29, v115
	v_add_f16_e32 v165, v245, v165
	v_fmamk_f16 v247, v132, 0x3722, v246
	v_add_f16_e32 v238, v247, v238
	v_mul_f16_e32 v247, 0x3964, v114
	v_fma_f16 v248, v85, 0x39e9, -v247
	v_fmac_f16_e32 v247, 0x39e9, v85
	v_add_f16_e32 v166, v248, v166
	v_mul_f16_e32 v248, 0xbbb2, v121
	v_add_f16_e32 v165, v247, v165
	v_fmamk_f16 v249, v138, 0xb461, v248
	v_fma_f16 v223, v138, 0xb461, -v248
	v_add_f16_e32 v238, v249, v238
	v_mul_f16_e32 v249, 0xba62, v118
	v_fma_f16 v250, v110, 0xb8d2, -v249
	v_fmac_f16_e32 v249, 0xb8d2, v110
	v_add_f16_e32 v166, v250, v166
	v_mul_f16_e32 v250, 0x3bf7, v126
	v_add_f16_e32 v165, v249, v165
	v_fmamk_f16 v251, v139, 0x2de8, v250
	v_fma_f16 v225, v139, 0x2de8, -v250
	v_add_f16_e32 v238, v251, v238
	v_mul_f16_e32 v251, 0x3b29, v124
	v_fma_f16 v252, v112, 0x3722, -v251
	v_fmac_f16_e32 v251, 0x3722, v112
	v_add_f16_e32 v166, v252, v166
	v_add_f16_e32 v165, v251, v165
	;; [unrolled: 1-line block ×3, first 2 shown]
	v_fma_f16 v241, v122, 0x39e9, -v242
	v_add_f16_e32 v165, v239, v165
	v_add_f16_e32 v237, v241, v237
	v_mul_f16_e32 v241, 0x3bf7, v133
	v_fma_f16 v242, v123, 0x2de8, -v241
	v_fmac_f16_e32 v241, 0x2de8, v123
	v_add_f16_e32 v166, v242, v166
	v_fma_f16 v242, v128, 0xb8d2, -v244
	v_add_f16_e32 v165, v241, v165
	v_add_f16_e32 v237, v242, v237
	v_fma_f16 v242, v132, 0x3722, -v246
	v_add_f16_e32 v237, v242, v237
	v_add_f16_e32 v223, v223, v237
	;; [unrolled: 1-line block ×3, first 2 shown]
	v_fma_f16 v225, v122, 0xb8d2, -v226
	v_mul_f16_e32 v122, 0x2de8, v122
	v_add_f16_e32 v221, v225, v221
	v_fmamk_f16 v125, v88, 0x3bf7, v122
	v_fma_f16 v225, v128, 0x3b76, -v228
	v_mul_f16_e32 v128, 0xb461, v128
	v_fmac_f16_e32 v122, 0xbbf7, v88
	v_add_f16_e32 v125, v125, v127
	v_mul_f16_e32 v127, 0x3b76, v123
	v_fmamk_f16 v134, v111, 0x3bb2, v128
	v_add_f16_e32 v7, v122, v8
	v_fmac_f16_e32 v128, 0xbbb2, v111
	v_add_f16_e32 v8, v45, v9
	v_add_f16_e32 v127, v127, v149
	v_fma_f16 v9, v85, 0x2de8, -v59
	v_add_f16_e32 v221, v225, v221
	v_fma_f16 v225, v132, 0xbbdd, -v230
	v_add_f16_e32 v125, v134, v125
	v_add_f16_e32 v120, v127, v120
	v_mul_f16_e32 v127, 0xb8d2, v132
	v_add_f16_e32 v6, v128, v7
	v_add_f16_e32 v7, v46, v8
	;; [unrolled: 1-line block ×3, first 2 shown]
	v_fma_f16 v8, v110, 0xb461, -v12
	v_fmamk_f16 v132, v115, 0x3a62, v127
	v_fmac_f16_e32 v127, 0xba62, v115
	v_add_f16_e32 v221, v225, v221
	v_fma_f16 v225, v138, 0x39e9, -v232
	v_add_f16_e32 v2, v8, v2
	v_add_f16_e32 v125, v132, v125
	;; [unrolled: 1-line block ×3, first 2 shown]
	v_lshrrev_b32_e32 v6, 1, v78
	v_fma_f16 v8, v112, 0xb8d2, -v10
	v_add_f16_e32 v221, v225, v221
	v_add_f16_e32 v61, v61, v125
	;; [unrolled: 1-line block ×3, first 2 shown]
	v_mul_u32_u24_e32 v3, 34, v6
	v_add_f16_e32 v2, v8, v2
	v_fma_f16 v6, v116, 0xbacd, -v44
	v_add_f16_e32 v54, v54, v61
	v_add_f16_e32 v5, v5, v7
	v_or_b32_e32 v3, v3, v82
	v_add_f16_e32 v207, v207, v221
	v_add_f16_e32 v2, v6, v2
	v_pack_b32_f16 v6, v120, v119
	v_pack_b32_f16 v0, v5, v0
	v_lshl_add_u32 v3, v3, 2, v81
	v_pack_b32_f16 v5, v11, v54
	v_pack_b32_f16 v7, v130, v135
	;; [unrolled: 1-line block ×6, first 2 shown]
	v_add_f16_e32 v1, v52, v1
	v_add_f16_e32 v2, v4, v2
	ds_write2_b32 v3, v0, v5 offset1:2
	ds_write2_b32 v3, v6, v7 offset0:4 offset1:6
	ds_write2_b32 v3, v8, v9 offset0:8 offset1:10
	;; [unrolled: 1-line block ×3, first 2 shown]
	v_pack_b32_f16 v0, v165, v223
	v_pack_b32_f16 v4, v166, v238
	;; [unrolled: 1-line block ×6, first 2 shown]
	v_perm_b32 v9, v15, v14, 0x5040100
	v_perm_b32 v10, v43, v42, 0x5040100
	v_pack_b32_f16 v1, v2, v1
	ds_write2_b32 v3, v0, v4 offset0:16 offset1:18
	ds_write2_b32 v3, v5, v6 offset0:20 offset1:22
	;; [unrolled: 1-line block ×4, first 2 shown]
	ds_write_b32 v3, v1 offset:128
.LBB0_25:
	s_or_b32 exec_lo, exec_lo, s1
	v_add_nc_u32_e32 v2, 0x400, v65
	v_add_nc_u32_e32 v3, 0x800, v65
	;; [unrolled: 1-line block ×4, first 2 shown]
	s_waitcnt lgkmcnt(0)
	s_barrier
	buffer_gl0_inv
	ds_read2_b32 v[6:7], v65 offset1:68
	ds_read2_b32 v[0:1], v2 offset0:152 offset1:254
	ds_read2_b32 v[12:13], v3 offset0:66 offset1:134
	;; [unrolled: 1-line block ×6, first 2 shown]
	s_and_saveexec_b32 s0, vcc_lo
	s_cbranch_execz .LBB0_27
; %bb.26:
	ds_read_b32 v14, v65 offset:1904
	ds_read_b32 v42, v65 offset:3944
	s_waitcnt lgkmcnt(1)
	v_lshrrev_b32_e32 v15, 16, v14
	s_waitcnt lgkmcnt(0)
	v_lshrrev_b32_e32 v43, 16, v42
.LBB0_27:
	s_or_b32 exec_lo, exec_lo, s0
	s_waitcnt lgkmcnt(5)
	v_lshrrev_b32_e32 v46, 16, v1
	s_waitcnt lgkmcnt(4)
	v_lshrrev_b32_e32 v48, 16, v12
	;; [unrolled: 2-line block ×3, first 2 shown]
	v_mul_f16_sdwa v58, v95, v1 dst_sel:DWORD dst_unused:UNUSED_PAD src0_sel:WORD_1 src1_sel:DWORD
	v_lshrrev_b32_e32 v50, 16, v13
	v_mul_f16_sdwa v57, v95, v46 dst_sel:DWORD dst_unused:UNUSED_PAD src0_sel:WORD_1 src1_sel:DWORD
	v_mul_f16_sdwa v60, v97, v48 dst_sel:DWORD dst_unused:UNUSED_PAD src0_sel:WORD_1 src1_sel:DWORD
	v_lshrrev_b32_e32 v54, 16, v11
	v_mul_f16_sdwa v62, v94, v52 dst_sel:DWORD dst_unused:UNUSED_PAD src0_sel:WORD_1 src1_sel:DWORD
	s_waitcnt lgkmcnt(0)
	v_lshrrev_b32_e32 v61, 16, v9
	v_fmac_f16_e32 v57, v95, v1
	v_fma_f16 v1, v95, v46, -v58
	v_mul_f16_sdwa v46, v97, v12 dst_sel:DWORD dst_unused:UNUSED_PAD src0_sel:WORD_1 src1_sel:DWORD
	v_fmac_f16_e32 v60, v97, v12
	v_mul_f16_sdwa v12, v96, v50 dst_sel:DWORD dst_unused:UNUSED_PAD src0_sel:WORD_1 src1_sel:DWORD
	v_mul_f16_sdwa v58, v96, v13 dst_sel:DWORD dst_unused:UNUSED_PAD src0_sel:WORD_1 src1_sel:DWORD
	v_fmac_f16_e32 v62, v94, v10
	v_fma_f16 v46, v97, v48, -v46
	v_mul_f16_sdwa v48, v94, v10 dst_sel:DWORD dst_unused:UNUSED_PAD src0_sel:WORD_1 src1_sel:DWORD
	v_mul_f16_sdwa v10, v93, v54 dst_sel:DWORD dst_unused:UNUSED_PAD src0_sel:WORD_1 src1_sel:DWORD
	v_lshrrev_b32_e32 v56, 16, v8
	v_fmac_f16_e32 v12, v96, v13
	v_fma_f16 v13, v96, v50, -v58
	v_mul_f16_sdwa v50, v93, v11 dst_sel:DWORD dst_unused:UNUSED_PAD src0_sel:WORD_1 src1_sel:DWORD
	v_lshrrev_b32_e32 v45, 16, v6
	v_fmac_f16_e32 v10, v93, v11
	v_mul_f16_sdwa v11, v91, v61 dst_sel:DWORD dst_unused:UNUSED_PAD src0_sel:WORD_1 src1_sel:DWORD
	v_lshrrev_b32_e32 v47, 16, v7
	v_fma_f16 v48, v94, v52, -v48
	v_mul_f16_sdwa v52, v92, v56 dst_sel:DWORD dst_unused:UNUSED_PAD src0_sel:WORD_1 src1_sel:DWORD
	v_mul_f16_sdwa v58, v92, v8 dst_sel:DWORD dst_unused:UNUSED_PAD src0_sel:WORD_1 src1_sel:DWORD
	v_fma_f16 v50, v93, v54, -v50
	v_mul_f16_sdwa v54, v91, v9 dst_sel:DWORD dst_unused:UNUSED_PAD src0_sel:WORD_1 src1_sel:DWORD
	v_lshrrev_b32_e32 v49, 16, v4
	v_fmac_f16_e32 v11, v91, v9
	v_sub_f16_e32 v9, v6, v57
	v_sub_f16_e32 v1, v45, v1
	v_lshrrev_b32_e32 v51, 16, v5
	v_fmac_f16_e32 v52, v92, v8
	v_fma_f16 v8, v92, v56, -v58
	v_sub_f16_e32 v56, v7, v60
	v_sub_f16_e32 v46, v47, v46
	v_lshrrev_b32_e32 v53, 16, v2
	v_lshrrev_b32_e32 v55, 16, v3
	;; [unrolled: 1-line block ×3, first 2 shown]
	v_fma_f16 v54, v91, v61, -v54
	v_fma_f16 v6, v6, 2.0, -v9
	v_fma_f16 v45, v45, 2.0, -v1
	v_sub_f16_e32 v12, v4, v12
	v_sub_f16_e32 v13, v49, v13
	v_fma_f16 v7, v7, 2.0, -v56
	v_fma_f16 v47, v47, 2.0, -v46
	v_sub_f16_e32 v57, v5, v62
	v_sub_f16_e32 v48, v51, v48
	v_sub_f16_e32 v10, v2, v10
	v_sub_f16_e32 v50, v53, v50
	v_sub_f16_e32 v52, v3, v52
	v_sub_f16_e32 v8, v55, v8
	v_sub_f16_e32 v11, v0, v11
	v_sub_f16_e32 v54, v59, v54
	v_fma_f16 v4, v4, 2.0, -v12
	v_fma_f16 v49, v49, 2.0, -v13
	v_pack_b32_f16 v6, v6, v45
	v_pack_b32_f16 v1, v9, v1
	v_fma_f16 v5, v5, 2.0, -v57
	v_fma_f16 v51, v51, 2.0, -v48
	v_pack_b32_f16 v7, v7, v47
	v_pack_b32_f16 v9, v56, v46
	v_fma_f16 v2, v2, 2.0, -v10
	v_fma_f16 v53, v53, 2.0, -v50
	;; [unrolled: 1-line block ×6, first 2 shown]
	v_add_nc_u32_e32 v44, 0x110, v65
	v_add_nc_u32_e32 v41, 0x220, v65
	s_barrier
	buffer_gl0_inv
	ds_write2_b32 v98, v6, v1 offset1:34
	ds_write2_b32 v104, v7, v9 offset1:34
	v_pack_b32_f16 v1, v4, v49
	v_pack_b32_f16 v4, v12, v13
	;; [unrolled: 1-line block ×10, first 2 shown]
	ds_write2_b32 v99, v1, v4 offset1:34
	ds_write2_b32 v100, v5, v6 offset1:34
	;; [unrolled: 1-line block ×5, first 2 shown]
	s_and_saveexec_b32 s0, vcc_lo
	s_cbranch_execz .LBB0_29
; %bb.28:
	v_mul_f16_sdwa v0, v90, v43 dst_sel:DWORD dst_unused:UNUSED_PAD src0_sel:WORD_1 src1_sel:DWORD
	v_mul_f16_sdwa v1, v90, v42 dst_sel:DWORD dst_unused:UNUSED_PAD src0_sel:WORD_1 src1_sel:DWORD
	v_lshl_add_u32 v4, v89, 2, v81
	v_fmac_f16_e32 v0, v90, v42
	v_fma_f16 v1, v90, v43, -v1
	v_sub_f16_e32 v0, v14, v0
	v_sub_f16_e32 v1, v15, v1
	v_fma_f16 v2, v14, 2.0, -v0
	v_fma_f16 v3, v15, 2.0, -v1
	v_pack_b32_f16 v0, v0, v1
	v_pack_b32_f16 v1, v2, v3
	v_add_nc_u32_e32 v2, 0xc00, v4
	ds_write2_b32 v2, v1, v0 offset0:184 offset1:218
.LBB0_29:
	s_or_b32 exec_lo, exec_lo, s0
	v_add_nc_u32_e32 v3, 0x400, v65
	v_add_nc_u32_e32 v4, 0x800, v65
	;; [unrolled: 1-line block ×3, first 2 shown]
	s_waitcnt lgkmcnt(0)
	s_barrier
	buffer_gl0_inv
	ds_read2_b32 v[0:1], v65 offset1:68
	ds_read2_b32 v[5:6], v65 offset0:136 offset1:204
	ds_read2_b32 v[7:8], v3 offset0:16 offset1:84
	ds_read_b32 v15, v65 offset:3808
	ds_read2_b32 v[9:10], v4 offset0:168 offset1:236
	ds_read2_b32 v[11:12], v3 offset0:152 offset1:220
	;; [unrolled: 1-line block ×4, first 2 shown]
	s_waitcnt lgkmcnt(0)
	s_barrier
	buffer_gl0_inv
	s_mov_b32 s4, 0x10101010
	s_mov_b32 s5, 0x3f501010
	v_lshrrev_b32_e32 v51, 16, v9
	v_lshrrev_b32_e32 v50, 16, v8
	;; [unrolled: 1-line block ×3, first 2 shown]
	v_mul_f16_sdwa v59, v33, v8 dst_sel:DWORD dst_unused:UNUSED_PAD src0_sel:WORD_1 src1_sel:DWORD
	v_lshrrev_b32_e32 v53, 16, v10
	v_mul_f16_sdwa v62, v34, v51 dst_sel:DWORD dst_unused:UNUSED_PAD src0_sel:WORD_1 src1_sel:DWORD
	v_mul_f16_sdwa v61, v33, v50 dst_sel:DWORD dst_unused:UNUSED_PAD src0_sel:WORD_1 src1_sel:DWORD
	;; [unrolled: 1-line block ×3, first 2 shown]
	v_fma_f16 v50, v33, v50, -v59
	v_mul_f16_sdwa v59, v33, v52 dst_sel:DWORD dst_unused:UNUSED_PAD src0_sel:WORD_1 src1_sel:DWORD
	v_lshrrev_b32_e32 v54, 16, v12
	v_lshrrev_b32_e32 v55, 16, v13
	v_fmac_f16_e32 v61, v33, v8
	v_fmac_f16_e32 v62, v34, v9
	v_mul_f16_sdwa v8, v33, v11 dst_sel:DWORD dst_unused:UNUSED_PAD src0_sel:WORD_1 src1_sel:DWORD
	v_fma_f16 v9, v34, v51, -v63
	v_mul_f16_sdwa v51, v34, v53 dst_sel:DWORD dst_unused:UNUSED_PAD src0_sel:WORD_1 src1_sel:DWORD
	v_fmac_f16_e32 v59, v33, v11
	v_mul_f16_sdwa v11, v34, v10 dst_sel:DWORD dst_unused:UNUSED_PAD src0_sel:WORD_1 src1_sel:DWORD
	v_lshrrev_b32_e32 v56, 16, v42
	v_fma_f16 v8, v33, v52, -v8
	v_mul_f16_sdwa v33, v39, v54 dst_sel:DWORD dst_unused:UNUSED_PAD src0_sel:WORD_1 src1_sel:DWORD
	v_fmac_f16_e32 v51, v34, v10
	v_mul_f16_sdwa v10, v39, v12 dst_sel:DWORD dst_unused:UNUSED_PAD src0_sel:WORD_1 src1_sel:DWORD
	v_fma_f16 v11, v34, v53, -v11
	v_mul_f16_sdwa v34, v40, v55 dst_sel:DWORD dst_unused:UNUSED_PAD src0_sel:WORD_1 src1_sel:DWORD
	v_lshrrev_b32_e32 v57, 16, v14
	v_lshrrev_b32_e32 v60, 16, v43
	v_fmac_f16_e32 v33, v39, v12
	v_mul_f16_sdwa v12, v40, v13 dst_sel:DWORD dst_unused:UNUSED_PAD src0_sel:WORD_1 src1_sel:DWORD
	v_fma_f16 v10, v39, v54, -v10
	v_mul_f16_sdwa v39, v37, v56 dst_sel:DWORD dst_unused:UNUSED_PAD src0_sel:WORD_1 src1_sel:DWORD
	v_fmac_f16_e32 v34, v40, v13
	v_mul_f16_sdwa v13, v37, v42 dst_sel:DWORD dst_unused:UNUSED_PAD src0_sel:WORD_1 src1_sel:DWORD
	v_lshrrev_b32_e32 v49, 16, v15
	v_fma_f16 v12, v40, v55, -v12
	v_mul_f16_sdwa v40, v38, v57 dst_sel:DWORD dst_unused:UNUSED_PAD src0_sel:WORD_1 src1_sel:DWORD
	v_fmac_f16_e32 v39, v37, v42
	v_mul_f16_sdwa v42, v38, v14 dst_sel:DWORD dst_unused:UNUSED_PAD src0_sel:WORD_1 src1_sel:DWORD
	v_fma_f16 v13, v37, v56, -v13
	v_mul_f16_sdwa v37, v35, v60 dst_sel:DWORD dst_unused:UNUSED_PAD src0_sel:WORD_1 src1_sel:DWORD
	v_fmac_f16_e32 v40, v38, v14
	v_mul_f16_sdwa v14, v35, v43 dst_sel:DWORD dst_unused:UNUSED_PAD src0_sel:WORD_1 src1_sel:DWORD
	v_fma_f16 v38, v38, v57, -v42
	v_mul_f16_sdwa v42, v36, v49 dst_sel:DWORD dst_unused:UNUSED_PAD src0_sel:WORD_1 src1_sel:DWORD
	v_fmac_f16_e32 v37, v35, v43
	v_mul_f16_sdwa v43, v36, v15 dst_sel:DWORD dst_unused:UNUSED_PAD src0_sel:WORD_1 src1_sel:DWORD
	v_lshrrev_b32_e32 v45, 16, v0
	v_fma_f16 v14, v35, v60, -v14
	v_add_f16_e32 v35, v61, v62
	v_fmac_f16_e32 v42, v36, v15
	v_fma_f16 v36, v36, v49, -v43
	v_add_f16_e32 v43, v50, v9
	v_add_f16_e32 v15, v0, v61
	v_fma_f16 v0, -0.5, v35, v0
	v_sub_f16_e32 v35, v50, v9
	v_add_f16_e32 v49, v45, v50
	v_fmac_f16_e32 v45, -0.5, v43
	v_sub_f16_e32 v43, v61, v62
	v_lshrrev_b32_e32 v46, 16, v1
	v_fmamk_f16 v50, v35, 0xbaee, v0
	v_fmac_f16_e32 v0, 0x3aee, v35
	v_add_f16_e32 v9, v49, v9
	v_add_f16_e32 v35, v59, v51
	v_fmamk_f16 v49, v43, 0x3aee, v45
	v_fmac_f16_e32 v45, 0xbaee, v43
	v_add_f16_e32 v43, v8, v11
	v_add_f16_e32 v52, v1, v59
	v_fmac_f16_e32 v1, -0.5, v35
	v_sub_f16_e32 v35, v8, v11
	v_add_f16_e32 v8, v46, v8
	v_fmac_f16_e32 v46, -0.5, v43
	v_sub_f16_e32 v43, v59, v51
	v_lshrrev_b32_e32 v47, 16, v5
	v_add_f16_e32 v52, v52, v51
	v_fmamk_f16 v51, v35, 0xbaee, v1
	v_fmac_f16_e32 v1, 0x3aee, v35
	v_add_f16_e32 v8, v8, v11
	v_add_f16_e32 v11, v33, v34
	v_fmamk_f16 v35, v43, 0x3aee, v46
	v_fmac_f16_e32 v46, 0xbaee, v43
	v_add_f16_e32 v43, v10, v12
	v_add_f16_e32 v53, v5, v33
	v_fma_f16 v5, -0.5, v11, v5
	v_sub_f16_e32 v11, v10, v12
	v_add_f16_e32 v10, v47, v10
	v_fmac_f16_e32 v47, -0.5, v43
	v_sub_f16_e32 v33, v33, v34
	v_lshrrev_b32_e32 v48, 16, v6
	v_add_f16_e32 v53, v53, v34
	v_fmamk_f16 v34, v11, 0xbaee, v5
	v_fmac_f16_e32 v5, 0x3aee, v11
	v_add_f16_e32 v10, v10, v12
	v_add_f16_e32 v11, v39, v40
	v_fmamk_f16 v12, v33, 0x3aee, v47
	v_fmac_f16_e32 v47, 0xbaee, v33
	v_add_f16_e32 v33, v13, v38
	v_add_f16_e32 v43, v6, v39
	v_fmac_f16_e32 v6, -0.5, v11
	v_sub_f16_e32 v11, v13, v38
	v_add_f16_e32 v13, v48, v13
	v_fmac_f16_e32 v48, -0.5, v33
	v_sub_f16_e32 v33, v39, v40
	v_lshrrev_b32_e32 v58, 16, v7
	v_fmamk_f16 v39, v11, 0xbaee, v6
	v_fmac_f16_e32 v6, 0x3aee, v11
	v_add_f16_e32 v11, v13, v38
	v_add_f16_e32 v13, v37, v42
	v_fmamk_f16 v38, v33, 0x3aee, v48
	v_fmac_f16_e32 v48, 0xbaee, v33
	v_add_f16_e32 v33, v14, v36
	v_add_f16_e32 v15, v15, v62
	;; [unrolled: 1-line block ×4, first 2 shown]
	v_fmac_f16_e32 v7, -0.5, v13
	v_sub_f16_e32 v13, v14, v36
	v_add_f16_e32 v14, v58, v14
	v_fmac_f16_e32 v58, -0.5, v33
	v_sub_f16_e32 v33, v37, v42
	v_pack_b32_f16 v9, v15, v9
	v_pack_b32_f16 v15, v50, v49
	;; [unrolled: 1-line block ×4, first 2 shown]
	v_add_f16_e32 v37, v40, v42
	v_fmamk_f16 v40, v13, 0xbaee, v7
	v_fmac_f16_e32 v7, 0x3aee, v13
	v_add_f16_e32 v13, v14, v36
	v_fmamk_f16 v14, v33, 0x3aee, v58
	v_fmac_f16_e32 v58, 0xbaee, v33
	v_pack_b32_f16 v33, v51, v35
	v_pack_b32_f16 v1, v1, v46
	;; [unrolled: 1-line block ×4, first 2 shown]
	v_add_nc_u32_e32 v34, 0x400, v108
	ds_write2_b32 v65, v9, v15 offset1:68
	ds_write2_b32 v65, v0, v8 offset0:136 offset1:204
	ds_write2_b32 v3, v33, v1 offset0:16 offset1:84
	;; [unrolled: 1-line block ×3, first 2 shown]
	v_pack_b32_f16 v0, v5, v47
	v_pack_b32_f16 v1, v43, v11
	;; [unrolled: 1-line block ×3, first 2 shown]
	v_add_nc_u32_e32 v8, 0x800, v107
	v_pack_b32_f16 v6, v6, v48
	v_pack_b32_f16 v9, v37, v13
	;; [unrolled: 1-line block ×3, first 2 shown]
	v_add_nc_u32_e32 v11, 0xc00, v106
	v_pack_b32_f16 v7, v7, v58
	ds_write_b32 v108, v0 offset:2176
	ds_write2_b32 v8, v1, v5 offset0:100 offset1:168
	ds_write_b32 v107, v6 offset:2992
	ds_write2_b32 v11, v9, v10 offset0:48 offset1:116
	ds_write_b32 v106, v7 offset:3808
	s_waitcnt lgkmcnt(0)
	s_barrier
	buffer_gl0_inv
	ds_read2_b32 v[0:1], v65 offset1:68
	ds_read2_b32 v[5:6], v65 offset0:136 offset1:204
	ds_read2_b32 v[7:8], v3 offset0:152 offset1:220
	;; [unrolled: 1-line block ×6, first 2 shown]
	ds_read_b32 v15, v65 offset:3808
	s_waitcnt lgkmcnt(7)
	v_lshrrev_b32_e32 v35, 16, v0
	s_waitcnt lgkmcnt(6)
	v_lshrrev_b32_e32 v36, 16, v6
	;; [unrolled: 2-line block ×6, first 2 shown]
	v_mul_f16_sdwa v52, v24, v36 dst_sel:DWORD dst_unused:UNUSED_PAD src0_sel:WORD_1 src1_sel:DWORD
	v_mul_f16_sdwa v53, v24, v6 dst_sel:DWORD dst_unused:UNUSED_PAD src0_sel:WORD_1 src1_sel:DWORD
	;; [unrolled: 1-line block ×5, first 2 shown]
	v_lshrrev_b32_e32 v43, 16, v8
	s_waitcnt lgkmcnt(1)
	v_lshrrev_b32_e32 v45, 16, v33
	v_fmac_f16_e32 v52, v24, v6
	v_fma_f16 v6, v24, v36, -v53
	v_fmac_f16_e32 v54, v25, v7
	v_fma_f16 v7, v25, v37, -v55
	v_fmac_f16_e32 v56, v26, v10
	v_mul_f16_sdwa v10, v26, v10 dst_sel:DWORD dst_unused:UNUSED_PAD src0_sel:WORD_1 src1_sel:DWORD
	v_mul_f16_sdwa v24, v27, v39 dst_sel:DWORD dst_unused:UNUSED_PAD src0_sel:WORD_1 src1_sel:DWORD
	;; [unrolled: 1-line block ×5, first 2 shown]
	v_lshrrev_b32_e32 v46, 16, v12
	v_lshrrev_b32_e32 v48, 16, v14
	v_fma_f16 v10, v26, v38, -v10
	v_fmac_f16_e32 v24, v27, v11
	v_fma_f16 v11, v27, v39, -v25
	v_fmac_f16_e32 v36, v20, v13
	v_fma_f16 v13, v20, v42, -v37
	v_mul_f16_sdwa v20, v21, v43 dst_sel:DWORD dst_unused:UNUSED_PAD src0_sel:WORD_1 src1_sel:DWORD
	v_mul_f16_sdwa v25, v21, v8 dst_sel:DWORD dst_unused:UNUSED_PAD src0_sel:WORD_1 src1_sel:DWORD
	;; [unrolled: 1-line block ×4, first 2 shown]
	v_lshrrev_b32_e32 v49, 16, v9
	v_mul_f16_sdwa v37, v23, v46 dst_sel:DWORD dst_unused:UNUSED_PAD src0_sel:WORD_1 src1_sel:DWORD
	v_fmac_f16_e32 v20, v21, v8
	v_fma_f16 v8, v21, v43, -v25
	v_fmac_f16_e32 v26, v22, v33
	v_fma_f16 v21, v22, v45, -v27
	v_mul_f16_sdwa v22, v16, v48 dst_sel:DWORD dst_unused:UNUSED_PAD src0_sel:WORD_1 src1_sel:DWORD
	v_mul_f16_sdwa v25, v16, v14 dst_sel:DWORD dst_unused:UNUSED_PAD src0_sel:WORD_1 src1_sel:DWORD
	v_lshrrev_b32_e32 v50, 16, v34
	v_fmac_f16_e32 v37, v23, v12
	v_mul_f16_sdwa v12, v23, v12 dst_sel:DWORD dst_unused:UNUSED_PAD src0_sel:WORD_1 src1_sel:DWORD
	v_mul_f16_sdwa v27, v17, v49 dst_sel:DWORD dst_unused:UNUSED_PAD src0_sel:WORD_1 src1_sel:DWORD
	;; [unrolled: 1-line block ×3, first 2 shown]
	v_fmac_f16_e32 v22, v16, v14
	v_fma_f16 v14, v16, v48, -v25
	v_add_f16_e32 v16, v54, v56
	s_waitcnt lgkmcnt(0)
	v_lshrrev_b32_e32 v51, 16, v15
	v_fma_f16 v12, v23, v46, -v12
	v_fmac_f16_e32 v27, v17, v9
	v_fma_f16 v9, v17, v49, -v33
	v_mul_f16_sdwa v17, v18, v50 dst_sel:DWORD dst_unused:UNUSED_PAD src0_sel:WORD_1 src1_sel:DWORD
	v_mul_f16_sdwa v23, v18, v34 dst_sel:DWORD dst_unused:UNUSED_PAD src0_sel:WORD_1 src1_sel:DWORD
	v_add_f16_e32 v33, v0, v52
	v_fma_f16 v16, -0.5, v16, v0
	v_sub_f16_e32 v38, v6, v11
	v_mul_f16_sdwa v25, v19, v51 dst_sel:DWORD dst_unused:UNUSED_PAD src0_sel:WORD_1 src1_sel:DWORD
	v_fmac_f16_e32 v17, v18, v34
	v_fma_f16 v18, v18, v50, -v23
	v_add_f16_e32 v23, v33, v54
	v_fmamk_f16 v33, v38, 0xbb9c, v16
	v_sub_f16_e32 v34, v7, v10
	v_sub_f16_e32 v39, v52, v54
	;; [unrolled: 1-line block ×3, first 2 shown]
	v_add_f16_e32 v43, v52, v24
	v_fmac_f16_e32 v16, 0x3b9c, v38
	v_fmac_f16_e32 v25, v19, v15
	v_mul_f16_sdwa v15, v19, v15 dst_sel:DWORD dst_unused:UNUSED_PAD src0_sel:WORD_1 src1_sel:DWORD
	v_add_f16_e32 v23, v23, v56
	v_fmac_f16_e32 v33, 0xb8b4, v34
	v_add_f16_e32 v39, v39, v42
	v_fma_f16 v0, -0.5, v43, v0
	v_sub_f16_e32 v42, v54, v52
	v_sub_f16_e32 v43, v56, v24
	v_fmac_f16_e32 v16, 0x38b4, v34
	v_add_f16_e32 v45, v35, v6
	v_add_f16_e32 v46, v7, v10
	v_fma_f16 v15, v19, v51, -v15
	v_add_f16_e32 v19, v23, v24
	v_fmac_f16_e32 v33, 0x34f2, v39
	v_fmamk_f16 v23, v34, 0x3b9c, v0
	v_add_f16_e32 v42, v42, v43
	v_fmac_f16_e32 v0, 0xbb9c, v34
	v_add_f16_e32 v34, v45, v7
	v_fma_f16 v43, -0.5, v46, v35
	v_sub_f16_e32 v24, v52, v24
	v_fmac_f16_e32 v16, 0x34f2, v39
	v_add_f16_e32 v39, v6, v11
	v_sub_f16_e32 v46, v6, v7
	v_sub_f16_e32 v6, v7, v6
	;; [unrolled: 1-line block ×3, first 2 shown]
	v_fmac_f16_e32 v23, 0xb8b4, v38
	v_fmac_f16_e32 v0, 0x38b4, v38
	v_add_f16_e32 v34, v34, v10
	v_fmamk_f16 v38, v24, 0x3b9c, v43
	v_sub_f16_e32 v45, v54, v56
	v_sub_f16_e32 v48, v11, v10
	v_fmac_f16_e32 v35, -0.5, v39
	v_fmac_f16_e32 v43, 0xbb9c, v24
	v_add_f16_e32 v10, v20, v26
	v_add_f16_e32 v6, v6, v7
	;; [unrolled: 1-line block ×3, first 2 shown]
	v_lshrrev_b32_e32 v40, 16, v1
	v_fmac_f16_e32 v23, 0x34f2, v42
	v_fmac_f16_e32 v0, 0x34f2, v42
	v_add_f16_e32 v34, v34, v11
	v_fmac_f16_e32 v38, 0x38b4, v45
	v_add_f16_e32 v39, v46, v48
	v_fmamk_f16 v42, v45, 0xbb9c, v35
	v_fmac_f16_e32 v43, 0xb8b4, v45
	v_fma_f16 v10, -0.5, v10, v1
	v_sub_f16_e32 v11, v13, v12
	v_fmac_f16_e32 v35, 0x3b9c, v45
	v_add_f16_e32 v7, v7, v20
	v_add_f16_e32 v49, v36, v37
	v_fmac_f16_e32 v38, 0x34f2, v39
	v_fmac_f16_e32 v42, 0x38b4, v24
	;; [unrolled: 1-line block ×3, first 2 shown]
	v_fmamk_f16 v39, v11, 0xbb9c, v10
	v_sub_f16_e32 v45, v8, v21
	v_fmac_f16_e32 v35, 0xb8b4, v24
	v_add_f16_e32 v7, v7, v26
	v_fmac_f16_e32 v1, -0.5, v49
	v_fmac_f16_e32 v10, 0x3b9c, v11
	v_add_f16_e32 v49, v40, v13
	v_fmac_f16_e32 v42, 0x34f2, v6
	v_sub_f16_e32 v46, v36, v20
	v_sub_f16_e32 v48, v37, v26
	v_fmac_f16_e32 v39, 0xb8b4, v45
	v_fmac_f16_e32 v35, 0x34f2, v6
	v_add_f16_e32 v6, v7, v37
	v_fmamk_f16 v7, v45, 0x3b9c, v1
	v_fmac_f16_e32 v10, 0x38b4, v45
	v_fmac_f16_e32 v1, 0xbb9c, v45
	v_add_f16_e32 v45, v49, v8
	v_add_f16_e32 v24, v46, v48
	v_sub_f16_e32 v46, v20, v36
	v_sub_f16_e32 v48, v26, v37
	v_add_f16_e32 v50, v8, v21
	v_fmac_f16_e32 v7, 0xb8b4, v11
	v_sub_f16_e32 v36, v36, v37
	v_fmac_f16_e32 v1, 0x38b4, v11
	v_add_f16_e32 v11, v45, v21
	v_add_f16_e32 v37, v13, v12
	v_add_f16_e32 v46, v46, v48
	v_fma_f16 v48, -0.5, v50, v40
	v_sub_f16_e32 v20, v20, v26
	v_sub_f16_e32 v26, v13, v8
	;; [unrolled: 1-line block ×3, first 2 shown]
	v_fmac_f16_e32 v40, -0.5, v37
	v_add_f16_e32 v11, v11, v12
	v_sub_f16_e32 v8, v8, v13
	v_sub_f16_e32 v12, v21, v12
	v_fmac_f16_e32 v39, 0x34f2, v24
	v_fmac_f16_e32 v10, 0x34f2, v24
	v_fmamk_f16 v24, v36, 0x3b9c, v48
	v_fmac_f16_e32 v48, 0xbb9c, v36
	v_fmamk_f16 v37, v20, 0xbb9c, v40
	v_add_f16_e32 v8, v8, v12
	v_add_f16_e32 v12, v5, v22
	v_fmac_f16_e32 v40, 0x3b9c, v20
	v_fmac_f16_e32 v24, 0x38b4, v20
	v_add_f16_e32 v26, v26, v45
	v_add_f16_e32 v13, v27, v17
	v_fmac_f16_e32 v48, 0xb8b4, v20
	v_fmac_f16_e32 v37, 0x38b4, v36
	v_add_f16_e32 v12, v12, v27
	v_fmac_f16_e32 v40, 0xb8b4, v36
	v_add_f16_e32 v36, v22, v25
	v_lshrrev_b32_e32 v47, 16, v5
	v_fmac_f16_e32 v7, 0x34f2, v46
	v_fmac_f16_e32 v1, 0x34f2, v46
	;; [unrolled: 1-line block ×3, first 2 shown]
	v_fma_f16 v13, -0.5, v13, v5
	v_fmac_f16_e32 v48, 0x34f2, v26
	v_sub_f16_e32 v26, v9, v18
	v_sub_f16_e32 v45, v22, v27
	;; [unrolled: 1-line block ×3, first 2 shown]
	v_add_f16_e32 v12, v12, v17
	v_fmac_f16_e32 v5, -0.5, v36
	v_sub_f16_e32 v21, v14, v15
	v_fmac_f16_e32 v37, 0x34f2, v8
	v_add_f16_e32 v45, v45, v46
	v_fmac_f16_e32 v40, 0x34f2, v8
	v_add_f16_e32 v8, v12, v25
	v_fmamk_f16 v12, v26, 0x3b9c, v5
	v_sub_f16_e32 v36, v27, v22
	v_sub_f16_e32 v46, v17, v25
	v_fmac_f16_e32 v5, 0xbb9c, v26
	v_fmamk_f16 v20, v21, 0xbb9c, v13
	v_fmac_f16_e32 v13, 0x3b9c, v21
	v_fmac_f16_e32 v12, 0xb8b4, v21
	v_add_f16_e32 v36, v36, v46
	v_fmac_f16_e32 v5, 0x38b4, v21
	v_fmac_f16_e32 v20, 0xb8b4, v26
	;; [unrolled: 1-line block ×3, first 2 shown]
	v_add_f16_e32 v26, v47, v14
	v_add_f16_e32 v49, v9, v18
	v_fmac_f16_e32 v12, 0x34f2, v36
	v_fmac_f16_e32 v5, 0x34f2, v36
	v_add_f16_e32 v36, v14, v15
	v_add_f16_e32 v21, v26, v9
	v_fma_f16 v26, -0.5, v49, v47
	v_sub_f16_e32 v22, v22, v25
	v_sub_f16_e32 v17, v27, v17
	v_fmac_f16_e32 v47, -0.5, v36
	v_fmac_f16_e32 v20, 0x34f2, v45
	v_fmac_f16_e32 v13, 0x34f2, v45
	v_fmamk_f16 v25, v22, 0x3b9c, v26
	v_sub_f16_e32 v27, v14, v9
	v_sub_f16_e32 v45, v15, v18
	v_fmamk_f16 v36, v17, 0xbb9c, v47
	v_sub_f16_e32 v9, v9, v14
	v_sub_f16_e32 v14, v18, v15
	v_fmac_f16_e32 v26, 0xbb9c, v22
	v_fmac_f16_e32 v47, 0x3b9c, v17
	v_add_f16_e32 v21, v21, v18
	v_fmac_f16_e32 v25, 0x38b4, v17
	v_add_f16_e32 v27, v27, v45
	;; [unrolled: 2-line block ×3, first 2 shown]
	v_fmac_f16_e32 v26, 0xb8b4, v17
	v_fmac_f16_e32 v47, 0xb8b4, v22
	v_pack_b32_f16 v14, v19, v34
	v_add_f16_e32 v21, v21, v15
	v_pack_b32_f16 v15, v33, v38
	v_pack_b32_f16 v17, v23, v42
	v_add_nc_u32_e32 v18, 0x300, v65
	v_pack_b32_f16 v0, v0, v35
	v_pack_b32_f16 v16, v16, v43
	v_add_nc_u32_e32 v19, 0x900, v105
	v_fmac_f16_e32 v25, 0x34f2, v27
	v_fmac_f16_e32 v36, 0x34f2, v9
	;; [unrolled: 1-line block ×4, first 2 shown]
	ds_write_b32 v65, v14
	ds_write2_b32 v18, v15, v17 offset0:12 offset1:216
	ds_write2_b32 v19, v0, v16 offset0:36 offset1:240
	v_pack_b32_f16 v0, v6, v11
	v_pack_b32_f16 v6, v39, v24
	;; [unrolled: 1-line block ×3, first 2 shown]
	v_add_nc_u32_e32 v9, 0x300, v44
	v_pack_b32_f16 v1, v1, v40
	v_pack_b32_f16 v10, v10, v48
	v_add_nc_u32_e32 v11, 0x900, v44
	v_pack_b32_f16 v8, v8, v21
	v_pack_b32_f16 v14, v20, v25
	;; [unrolled: 1-line block ×3, first 2 shown]
	v_add_nc_u32_e32 v15, 0x300, v41
	v_pack_b32_f16 v5, v5, v47
	v_pack_b32_f16 v13, v13, v26
	v_add_nc_u32_e32 v16, 0x900, v41
	ds_write2_b32 v9, v6, v7 offset0:12 offset1:216
	ds_write2_b32 v11, v1, v10 offset0:36 offset1:240
	;; [unrolled: 1-line block ×5, first 2 shown]
	s_waitcnt lgkmcnt(0)
	s_barrier
	buffer_gl0_inv
	ds_read2_b32 v[5:6], v65 offset1:68
	s_waitcnt lgkmcnt(0)
	v_lshrrev_b32_e32 v9, 16, v5
	v_mul_f16_sdwa v0, v80, v9 dst_sel:DWORD dst_unused:UNUSED_PAD src0_sel:WORD_1 src1_sel:DWORD
	v_fmac_f16_e32 v0, v80, v5
	v_mul_f16_sdwa v5, v80, v5 dst_sel:DWORD dst_unused:UNUSED_PAD src0_sel:WORD_1 src1_sel:DWORD
	v_cvt_f32_f16_e32 v0, v0
	v_cvt_f64_f32_e32 v[0:1], v0
	v_mul_f64 v[7:8], v[0:1], s[4:5]
	v_fma_f16 v0, v80, v9, -v5
	v_cvt_f32_f16_e32 v0, v0
	v_cvt_f64_f32_e32 v[9:10], v0
	v_and_or_b32 v0, 0x1ff, v8, v7
	v_lshrrev_b32_e32 v7, 8, v8
	v_bfe_u32 v11, v8, 20, 11
	v_cmp_ne_u32_e64 s0, 0, v0
	ds_read2_b32 v[0:1], v3 offset0:152 offset1:254
	v_add_nc_u32_e32 v17, 0xfffffc10, v11
	v_cndmask_b32_e64 v5, 0, 1, s0
	v_mul_f64 v[9:10], v[9:10], s[4:5]
	v_and_or_b32 v7, 0xffe, v7, v5
	v_sub_nc_u32_e32 v5, 0x3f1, v11
	v_or_b32_e32 v12, 0x1000, v7
	v_med3_i32 v5, v5, 0, 13
	v_lshrrev_b32_e32 v13, v5, v12
	s_waitcnt lgkmcnt(0)
	v_lshrrev_b32_e32 v15, 16, v1
	v_lshlrev_b32_e32 v5, v5, v13
	v_mul_f16_sdwa v14, v79, v15 dst_sel:DWORD dst_unused:UNUSED_PAD src0_sel:WORD_1 src1_sel:DWORD
	v_and_or_b32 v9, 0x1ff, v10, v9
	v_lshrrev_b32_e32 v11, 8, v10
	v_bfe_u32 v16, v10, 20, 11
	v_cmp_ne_u32_e64 s0, v5, v12
	v_fmac_f16_e32 v14, v79, v1
	v_mul_f16_sdwa v1, v79, v1 dst_sel:DWORD dst_unused:UNUSED_PAD src0_sel:WORD_1 src1_sel:DWORD
	v_cndmask_b32_e64 v5, 0, 1, s0
	v_cmp_ne_u32_e64 s0, 0, v9
	v_cvt_f32_f16_e32 v12, v14
	v_sub_nc_u32_e32 v14, 0x3f1, v16
	v_fma_f16 v1, v79, v15, -v1
	v_or_b32_e32 v5, v13, v5
	v_cndmask_b32_e64 v9, 0, 1, s0
	v_lshl_or_b32 v13, v17, 12, v7
	v_cmp_gt_i32_e64 s0, 1, v17
	v_med3_i32 v19, v14, 0, 13
	v_cvt_f32_f16_e32 v1, v1
	v_and_or_b32 v9, 0xffe, v11, v9
	v_cvt_f64_f32_e32 v[11:12], v12
	v_cndmask_b32_e64 v5, v13, v5, s0
	v_mad_u64_u32 v[13:14], null, s10, v32, 0
	v_or_b32_e32 v18, 0x1000, v9
	v_and_b32_e32 v20, 7, v5
	v_lshrrev_b32_e32 v21, v19, v18
	v_cmp_lt_i32_e64 s0, 5, v20
	v_cmp_eq_u32_e64 s1, 3, v20
	v_lshrrev_b32_e32 v20, 2, v5
	v_lshlrev_b32_e32 v19, v19, v21
	v_mov_b32_e32 v5, v14
	s_or_b32 s0, s1, s0
	v_add_co_ci_u32_e64 v14, s0, 0, v20, s0
	v_cmp_ne_u32_e64 s0, v19, v18
	v_mul_f64 v[11:12], v[11:12], s[4:5]
	v_add_nc_u32_e32 v19, 0xfffffc10, v16
	v_cndmask_b32_e64 v18, 0, 1, s0
	v_cmp_ne_u32_e64 s0, 0, v7
	v_or_b32_e32 v16, v21, v18
	v_cndmask_b32_e64 v7, 0, 1, s0
	v_cmp_gt_i32_e64 s0, 31, v17
	v_lshl_or_b32 v18, v19, 12, v9
	v_lshl_or_b32 v7, v7, 9, 0x7c00
	v_cndmask_b32_e64 v20, 0x7c00, v14, s0
	v_cmp_gt_i32_e64 s0, 1, v19
	v_mad_u64_u32 v[14:15], null, s11, v32, v[5:6]
	v_cndmask_b32_e64 v18, v18, v16, s0
	v_cvt_f64_f32_e32 v[15:16], v1
	v_and_or_b32 v1, 0x1ff, v12, v11
	v_cmp_eq_u32_e64 s0, 0x40f, v17
	v_lshrrev_b32_e32 v11, 8, v12
	v_and_b32_e32 v5, 7, v18
	v_cmp_ne_u32_e64 s2, 0, v1
	v_cndmask_b32_e64 v17, v20, v7, s0
	v_lshrrev_b32_e32 v20, 16, v8
	v_cmp_lt_i32_e64 s0, 5, v5
	v_cmp_eq_u32_e64 s1, 3, v5
	v_lshrrev_b32_e32 v5, 2, v18
	v_cndmask_b32_e64 v1, 0, 1, s2
	v_bfe_u32 v18, v12, 20, 11
	v_mad_u64_u32 v[7:8], null, s8, v78, 0
	s_or_b32 s0, s1, s0
	v_and_or_b32 v11, 0xffe, v11, v1
	v_add_co_ci_u32_e64 v5, s0, 0, v5, s0
	v_sub_nc_u32_e32 v21, 0x3f1, v18
	v_cmp_ne_u32_e64 s0, 0, v9
	v_mul_f64 v[15:16], v[15:16], s[4:5]
	v_mov_b32_e32 v1, v8
	v_or_b32_e32 v22, 0x1000, v11
	v_med3_i32 v21, v21, 0, 13
	v_cndmask_b32_e64 v9, 0, 1, s0
	v_cmp_gt_i32_e64 s0, 31, v19
	v_lshl_or_b32 v23, v9, 9, 0x7c00
	v_cndmask_b32_e64 v5, 0x7c00, v5, s0
	v_mad_u64_u32 v[8:9], null, s9, v78, v[1:2]
	v_lshrrev_b32_e32 v1, v21, v22
	v_cmp_eq_u32_e64 s0, 0x40f, v19
	v_lshrrev_b32_e32 v9, 16, v10
	v_and_or_b32 v10, 0x8000, v20, v17
	v_lshlrev_b32_e32 v17, v21, v1
	v_cndmask_b32_e64 v5, v5, v23, s0
	v_and_or_b32 v15, 0x1ff, v16, v15
	v_cmp_ne_u32_e64 s0, v17, v22
	v_and_or_b32 v5, 0x8000, v9, v5
	v_and_b32_e32 v9, 0xffff, v10
	v_add_nc_u32_e32 v17, 0xfffffc10, v18
	v_lshrrev_b32_e32 v18, 16, v6
	v_cndmask_b32_e64 v10, 0, 1, s0
	v_cmp_ne_u32_e64 s0, 0, v15
	v_lshl_or_b32 v19, v5, 16, v9
	v_lshl_or_b32 v5, v17, 12, v11
	v_mul_f16_sdwa v9, v77, v18 dst_sel:DWORD dst_unused:UNUSED_PAD src0_sel:WORD_1 src1_sel:DWORD
	v_or_b32_e32 v1, v1, v10
	v_cndmask_b32_e64 v10, 0, 1, s0
	v_cmp_gt_i32_e64 s0, 1, v17
	v_lshrrev_b32_e32 v15, 8, v16
	v_fmac_f16_e32 v9, v77, v6
	v_bfe_u32 v20, v16, 20, 11
	v_lshrrev_b32_e32 v16, 16, v16
	v_cndmask_b32_e64 v1, v5, v1, s0
	v_and_or_b32 v15, 0xffe, v15, v10
	v_cvt_f32_f16_e32 v21, v9
	v_lshlrev_b64 v[9:10], 2, v[13:14]
	v_sub_nc_u32_e32 v5, 0x3f1, v20
	v_and_b32_e32 v22, 7, v1
	v_or_b32_e32 v23, 0x1000, v15
	v_cvt_f64_f32_e32 v[13:14], v21
	v_lshrrev_b32_e32 v1, 2, v1
	v_add_co_u32 v21, s0, s6, v9
	v_med3_i32 v24, v5, 0, 13
	v_add_co_ci_u32_e64 v25, s0, s7, v10, s0
	v_cmp_lt_i32_e64 s0, 5, v22
	v_mul_f16_sdwa v9, v77, v6 dst_sel:DWORD dst_unused:UNUSED_PAD src0_sel:WORD_1 src1_sel:DWORD
	v_cmp_eq_u32_e64 s1, 3, v22
	v_lshrrev_b32_e32 v26, v24, v23
	v_lshlrev_b64 v[5:6], 2, v[7:8]
	s_mul_i32 s6, s8, 0x1fe
	v_fma_f16 v7, v77, v18, -v9
	s_or_b32 s0, s1, s0
	v_lshlrev_b32_e32 v8, v24, v26
	v_add_co_ci_u32_e64 v1, s0, 0, v1, s0
	v_cmp_ne_u32_e64 s0, 0, v11
	v_cvt_f32_f16_e32 v7, v7
	v_mul_f64 v[9:10], v[13:14], s[4:5]
	v_cndmask_b32_e64 v11, 0, 1, s0
	v_cmp_ne_u32_e64 s0, v8, v23
	v_cvt_f64_f32_e32 v[7:8], v7
	v_add_nc_u32_e32 v13, 0xfffffc10, v20
	v_lshl_or_b32 v11, v11, 9, 0x7c00
	v_cndmask_b32_e64 v18, 0, 1, s0
	v_cmp_gt_i32_e64 s0, 31, v17
	v_or_b32_e32 v14, v26, v18
	v_cndmask_b32_e64 v1, 0x7c00, v1, s0
	v_add_co_u32 v5, s0, v21, v5
	v_add_co_ci_u32_e64 v6, s0, v25, v6, s0
	v_lshl_or_b32 v18, v13, 12, v15
	v_cmp_gt_i32_e64 s0, 1, v13
	global_store_dword v[5:6], v19, off
	v_and_or_b32 v9, 0x1ff, v10, v9
	v_cndmask_b32_e64 v14, v18, v14, s0
	v_cmp_eq_u32_e64 s0, 0x40f, v17
	v_mul_f64 v[7:8], v[7:8], s[4:5]
	v_cmp_ne_u32_e64 s2, 0, v9
	v_and_b32_e32 v17, 7, v14
	v_cndmask_b32_e64 v1, v1, v11, s0
	v_lshrrev_b32_e32 v11, 16, v12
	v_cndmask_b32_e64 v9, 0, 1, s2
	s_mul_hi_u32 s2, s8, 0x1fe
	v_cmp_lt_i32_e64 s0, 5, v17
	v_cmp_eq_u32_e64 s1, 3, v17
	v_and_or_b32 v1, 0x8000, v11, v1
	ds_read2_b32 v[11:12], v4 offset0:66 offset1:134
	v_lshrrev_b32_e32 v4, 2, v14
	v_lshrrev_b32_e32 v14, 8, v10
	s_or_b32 s0, s1, s0
	v_bfe_u32 v17, v10, 20, 11
	v_and_b32_e32 v1, 0xffff, v1
	v_add_co_ci_u32_e64 v4, s0, 0, v4, s0
	v_cmp_ne_u32_e64 s0, 0, v15
	v_and_or_b32 v9, 0xffe, v14, v9
	v_sub_nc_u32_e32 v14, 0x3f1, v17
	v_and_or_b32 v7, 0x1ff, v8, v7
	v_lshrrev_b32_e32 v20, 8, v8
	v_cndmask_b32_e64 v15, 0, 1, s0
	v_cmp_gt_i32_e64 s0, 31, v13
	v_or_b32_e32 v18, 0x1000, v9
	v_med3_i32 v14, v14, 0, 13
	v_bfe_u32 v21, v8, 20, 11
	v_lshl_or_b32 v15, v15, 9, 0x7c00
	v_cndmask_b32_e64 v4, 0x7c00, v4, s0
	v_cmp_eq_u32_e64 s0, 0x40f, v13
	s_waitcnt lgkmcnt(0)
	v_lshrrev_b32_e32 v19, 16, v11
	v_add_nc_u32_e32 v17, 0xfffffc10, v17
	s_mul_i32 s1, s9, 0x1fe
	v_lshrrev_b32_e32 v10, 16, v10
	v_cndmask_b32_e64 v4, v4, v15, s0
	v_lshrrev_b32_e32 v15, v14, v18
	v_cmp_ne_u32_e64 s0, 0, v7
	v_mul_f16_sdwa v13, v76, v19 dst_sel:DWORD dst_unused:UNUSED_PAD src0_sel:WORD_1 src1_sel:DWORD
	s_add_i32 s7, s2, s1
	v_and_or_b32 v4, 0x8000, v16, v4
	v_lshlrev_b32_e32 v14, v14, v15
	v_cndmask_b32_e64 v7, 0, 1, s0
	v_fmac_f16_e32 v13, v76, v11
	v_lshl_or_b32 v16, v17, 12, v9
	v_mul_f16_sdwa v11, v76, v11 dst_sel:DWORD dst_unused:UNUSED_PAD src0_sel:WORD_1 src1_sel:DWORD
	v_cmp_ne_u32_e64 s0, v14, v18
	v_and_or_b32 v7, 0xffe, v20, v7
	v_sub_nc_u32_e32 v20, 0x3f1, v21
	v_cvt_f32_f16_e32 v13, v13
	v_add_nc_u32_e32 v21, 0xfffffc10, v21
	v_cndmask_b32_e64 v18, 0, 1, s0
	v_or_b32_e32 v22, 0x1000, v7
	v_med3_i32 v20, v20, 0, 13
	v_cvt_f64_f32_e32 v[13:14], v13
	v_cmp_gt_i32_e64 s0, 1, v17
	v_or_b32_e32 v15, v15, v18
	v_fma_f16 v11, v76, v19, -v11
	v_lshrrev_b32_e32 v18, v20, v22
	v_lshl_or_b32 v1, v4, 16, v1
	v_cmp_gt_i32_e64 s2, 1, v21
	v_cndmask_b32_e64 v15, v16, v15, s0
	v_cvt_f32_f16_e32 v11, v11
	v_lshlrev_b32_e32 v16, v20, v18
	v_lshrrev_b32_e32 v8, 16, v8
	s_lshl_b64 s[6:7], s[6:7], 2
	v_and_b32_e32 v20, 7, v15
	v_lshrrev_b32_e32 v15, 2, v15
	v_cmp_ne_u32_e64 s0, v16, v22
	v_cmp_eq_u32_e64 s1, 3, v20
	v_cndmask_b32_e64 v16, 0, 1, s0
	v_cmp_lt_i32_e64 s0, 5, v20
	v_mul_f64 v[13:14], v[13:14], s[4:5]
	v_or_b32_e32 v4, v18, v16
	v_lshl_or_b32 v16, v21, 12, v7
	s_or_b32 s0, s1, s0
	v_add_co_ci_u32_e64 v18, s0, 0, v15, s0
	v_cndmask_b32_e64 v4, v16, v4, s2
	v_cvt_f64_f32_e32 v[15:16], v11
	v_cmp_ne_u32_e64 s0, 0, v9
	v_cmp_eq_u32_e64 s2, 0x40f, v17
	v_and_b32_e32 v11, 7, v4
	v_lshrrev_b32_e32 v4, 2, v4
	v_cndmask_b32_e64 v9, 0, 1, s0
	v_cmp_gt_i32_e64 s0, 31, v17
	v_cmp_eq_u32_e64 s1, 3, v11
	v_lshl_or_b32 v9, v9, 9, 0x7c00
	v_cndmask_b32_e64 v18, 0x7c00, v18, s0
	v_cmp_lt_i32_e64 s0, 5, v11
	v_and_or_b32 v11, 0x1ff, v14, v13
	v_lshrrev_b32_e32 v13, 8, v14
	v_bfe_u32 v19, v14, 20, 11
	v_cndmask_b32_e64 v9, v18, v9, s2
	s_or_b32 s0, s1, s0
	ds_read2_b32 v[17:18], v65 offset0:136 offset1:204
	v_add_co_ci_u32_e64 v4, s0, 0, v4, s0
	v_cmp_ne_u32_e64 s0, 0, v7
	v_mul_f64 v[15:16], v[15:16], s[4:5]
	v_and_or_b32 v9, 0x8000, v10, v9
	s_mul_i32 s1, s9, 0xfffffe46
	v_lshrrev_b32_e32 v14, 16, v14
	v_cndmask_b32_e64 v7, 0, 1, s0
	v_cmp_ne_u32_e64 s0, 0, v11
	v_and_b32_e32 v9, 0xffff, v9
	v_lshl_or_b32 v7, v7, 9, 0x7c00
	v_cndmask_b32_e64 v11, 0, 1, s0
	v_cmp_gt_i32_e64 s0, 31, v21
	v_and_or_b32 v13, 0xffe, v13, v11
	v_cndmask_b32_e64 v4, 0x7c00, v4, s0
	v_sub_nc_u32_e32 v11, 0x3f1, v19
	v_cmp_eq_u32_e64 s0, 0x40f, v21
	s_waitcnt lgkmcnt(0)
	v_lshrrev_b32_e32 v10, 16, v17
	v_or_b32_e32 v20, 0x1000, v13
	v_add_nc_u32_e32 v19, 0xfffffc10, v19
	v_med3_i32 v11, v11, 0, 13
	v_cndmask_b32_e64 v7, v4, v7, s0
	v_add_co_u32 v4, s0, v5, s6
	v_add_co_ci_u32_e64 v5, s0, s7, v6, s0
	v_and_or_b32 v8, 0x8000, v8, v7
	v_lshrrev_b32_e32 v6, v11, v20
	v_and_or_b32 v7, 0x1ff, v16, v15
	s_mul_hi_u32 s0, s8, 0xfffffe46
	v_mul_f16_sdwa v15, v75, v10 dst_sel:DWORD dst_unused:UNUSED_PAD src0_sel:WORD_1 src1_sel:DWORD
	s_sub_i32 s2, s0, s8
	v_lshlrev_b32_e32 v11, v11, v6
	v_cmp_ne_u32_e64 s0, 0, v7
	v_lshrrev_b32_e32 v21, 8, v16
	v_bfe_u32 v22, v16, 20, 11
	v_fmac_f16_e32 v15, v75, v17
	v_mul_f16_sdwa v17, v75, v17 dst_sel:DWORD dst_unused:UNUSED_PAD src0_sel:WORD_1 src1_sel:DWORD
	v_cndmask_b32_e64 v7, 0, 1, s0
	v_cmp_ne_u32_e64 s0, v11, v20
	s_add_i32 s1, s2, s1
	v_cvt_f32_f16_e32 v15, v15
	v_fma_f16 v10, v75, v10, -v17
	v_and_or_b32 v20, 0xffe, v21, v7
	v_cndmask_b32_e64 v11, 0, 1, s0
	v_sub_nc_u32_e32 v7, 0x3f1, v22
	v_lshl_or_b32 v21, v19, 12, v13
	v_cmp_gt_i32_e64 s0, 1, v19
	v_or_b32_e32 v23, 0x1000, v20
	v_or_b32_e32 v11, v6, v11
	v_med3_i32 v24, v7, 0, 13
	v_cvt_f64_f32_e32 v[6:7], v15
	v_cvt_f32_f16_e32 v10, v10
	v_add_nc_u32_e32 v22, 0xfffffc10, v22
	v_cndmask_b32_e64 v11, v21, v11, s0
	v_lshrrev_b32_e32 v15, v24, v23
	s_mul_i32 s0, s8, 0xfffffe46
	v_lshl_or_b32 v21, v8, 16, v9
	s_lshl_b64 s[8:9], s[0:1], 2
	v_and_b32_e32 v25, 7, v11
	v_lshlrev_b32_e32 v24, v24, v15
	v_add_co_u32 v8, s0, v4, s8
	v_add_co_ci_u32_e64 v9, s0, s9, v5, s0
	v_cmp_ne_u32_e64 s1, v24, v23
	v_cmp_lt_i32_e64 s0, 5, v25
	v_lshrrev_b32_e32 v23, 2, v11
	v_cvt_f64_f32_e32 v[10:11], v10
	global_store_dword v[4:5], v1, off
	global_store_dword v[8:9], v21, off
	v_cndmask_b32_e64 v17, 0, 1, s1
	v_cmp_eq_u32_e64 s1, 3, v25
	v_lshrrev_b32_e32 v16, 16, v16
	v_mul_f64 v[6:7], v[6:7], s[4:5]
	v_or_b32_e32 v15, v15, v17
	s_or_b32 s0, s1, s0
	v_lshl_or_b32 v17, v22, 12, v20
	v_add_co_ci_u32_e64 v23, s0, 0, v23, s0
	v_cmp_ne_u32_e64 s0, 0, v13
	v_cndmask_b32_e64 v13, 0, 1, s0
	v_cmp_gt_i32_e64 s0, 1, v22
	v_lshl_or_b32 v13, v13, 9, 0x7c00
	v_cndmask_b32_e64 v15, v17, v15, s0
	v_cmp_gt_i32_e64 s0, 31, v19
	v_mul_f64 v[4:5], v[10:11], s[4:5]
	v_and_or_b32 v6, 0x1ff, v7, v6
	v_and_b32_e32 v1, 7, v15
	v_cndmask_b32_e64 v17, 0x7c00, v23, s0
	v_cmp_eq_u32_e64 s0, 0x40f, v19
	v_lshrrev_b32_e32 v10, 8, v7
	v_cmp_ne_u32_e64 s2, 0, v6
	v_cmp_eq_u32_e64 s1, 3, v1
	v_cndmask_b32_e64 v13, v17, v13, s0
	v_cmp_lt_i32_e64 s0, 5, v1
	v_lshrrev_b32_e32 v1, 2, v15
	v_cndmask_b32_e64 v6, 0, 1, s2
	v_bfe_u32 v15, v7, 20, 11
	v_lshrrev_b32_e32 v17, 16, v12
	s_or_b32 s0, s1, s0
	v_and_or_b32 v13, 0x8000, v14, v13
	v_add_co_ci_u32_e64 v1, s0, 0, v1, s0
	v_and_or_b32 v6, 0xffe, v10, v6
	v_sub_nc_u32_e32 v10, 0x3f1, v15
	v_cmp_ne_u32_e64 s0, 0, v20
	v_and_or_b32 v4, 0x1ff, v5, v4
	v_mul_f16_sdwa v11, v74, v17 dst_sel:DWORD dst_unused:UNUSED_PAD src0_sel:WORD_1 src1_sel:DWORD
	v_or_b32_e32 v20, 0x1000, v6
	v_med3_i32 v10, v10, 0, 13
	v_cndmask_b32_e64 v19, 0, 1, s0
	v_cmp_gt_i32_e64 s0, 31, v22
	v_fmac_f16_e32 v11, v74, v12
	v_add_nc_u32_e32 v15, 0xfffffc10, v15
	v_lshrrev_b32_e32 v21, v10, v20
	v_lshl_or_b32 v19, v19, 9, 0x7c00
	v_cndmask_b32_e64 v1, 0x7c00, v1, s0
	v_cmp_eq_u32_e64 s0, 0x40f, v22
	v_cvt_f32_f16_e32 v11, v11
	v_lshrrev_b32_e32 v22, 8, v5
	v_bfe_u32 v23, v5, 20, 11
	v_mul_f16_sdwa v12, v74, v12 dst_sel:DWORD dst_unused:UNUSED_PAD src0_sel:WORD_1 src1_sel:DWORD
	v_cndmask_b32_e64 v1, v1, v19, s0
	v_lshlrev_b32_e32 v19, v10, v21
	v_cmp_ne_u32_e64 s0, 0, v4
	v_cvt_f64_f32_e32 v[10:11], v11
	v_fma_f16 v12, v74, v17, -v12
	v_and_or_b32 v1, 0x8000, v16, v1
	v_and_b32_e32 v17, 0xffff, v13
	v_cndmask_b32_e64 v4, 0, 1, s0
	v_cmp_ne_u32_e64 s0, v19, v20
	v_sub_nc_u32_e32 v20, 0x3f1, v23
	v_cvt_f32_f16_e32 v12, v12
	v_lshrrev_b32_e32 v5, 16, v5
	v_and_or_b32 v4, 0xffe, v22, v4
	v_cndmask_b32_e64 v19, 0, 1, s0
	v_cmp_gt_i32_e64 s0, 1, v15
	v_med3_i32 v20, v20, 0, 13
	v_cvt_f64_f32_e32 v[12:13], v12
	v_or_b32_e32 v22, 0x1000, v4
	v_or_b32_e32 v19, v21, v19
	v_lshl_or_b32 v21, v15, 12, v6
	v_lshl_or_b32 v1, v1, 16, v17
	v_lshrrev_b32_e32 v14, v20, v22
	v_cndmask_b32_e64 v19, v21, v19, s0
	v_mul_f64 v[10:11], v[10:11], s[4:5]
	v_lshlrev_b32_e32 v20, v20, v14
	v_and_b32_e32 v16, 7, v19
	v_cmp_ne_u32_e64 s2, v20, v22
	v_add_nc_u32_e32 v20, 0xfffffc10, v23
	v_cmp_lt_i32_e64 s0, 5, v16
	v_cmp_eq_u32_e64 s1, 3, v16
	v_lshrrev_b32_e32 v16, 2, v19
	v_cndmask_b32_e64 v19, 0, 1, s2
	s_or_b32 s0, s1, s0
	v_add_co_ci_u32_e64 v16, s0, 0, v16, s0
	v_cmp_ne_u32_e64 s0, 0, v6
	v_or_b32_e32 v14, v14, v19
	v_lshl_or_b32 v19, v20, 12, v4
	v_and_or_b32 v10, 0x1ff, v11, v10
	v_bfe_u32 v21, v11, 20, 11
	v_cndmask_b32_e64 v6, 0, 1, s0
	v_cmp_gt_i32_e64 s0, 31, v15
	v_lshl_or_b32 v6, v6, 9, 0x7c00
	v_cndmask_b32_e64 v16, 0x7c00, v16, s0
	v_cmp_gt_i32_e64 s0, 1, v20
	v_cndmask_b32_e64 v14, v19, v14, s0
	v_cmp_eq_u32_e64 s0, 0x40f, v15
	v_and_b32_e32 v19, 7, v14
	v_cndmask_b32_e64 v15, v16, v6, s0
	v_lshrrev_b32_e32 v16, 16, v7
	v_mul_f64 v[6:7], v[12:13], s[4:5]
	v_cmp_ne_u32_e64 s0, 0, v10
	v_lshrrev_b32_e32 v12, 8, v11
	v_cmp_eq_u32_e64 s1, 3, v19
	v_lshrrev_b32_e32 v13, 2, v14
	v_lshrrev_b32_e32 v14, 16, v18
	v_cndmask_b32_e64 v10, 0, 1, s0
	v_cmp_lt_i32_e64 s0, 5, v19
	v_and_or_b32 v15, 0x8000, v16, v15
	v_mul_f16_sdwa v22, v73, v14 dst_sel:DWORD dst_unused:UNUSED_PAD src0_sel:WORD_1 src1_sel:DWORD
	v_and_or_b32 v10, 0xffe, v12, v10
	v_sub_nc_u32_e32 v12, 0x3f1, v21
	s_or_b32 s0, s1, s0
	v_add_nc_u32_e32 v21, 0xfffffc10, v21
	v_add_co_ci_u32_e64 v13, s0, 0, v13, s0
	v_or_b32_e32 v19, 0x1000, v10
	v_med3_i32 v12, v12, 0, 13
	v_cmp_gt_i32_e64 s0, 31, v20
	v_fmac_f16_e32 v22, v73, v18
	v_and_b32_e32 v15, 0xffff, v15
	v_and_or_b32 v6, 0x1ff, v7, v6
	v_lshrrev_b32_e32 v23, v12, v19
	v_cndmask_b32_e64 v16, 0x7c00, v13, s0
	v_cmp_ne_u32_e64 s0, 0, v4
	v_bfe_u32 v25, v7, 20, 11
	v_lshlrev_b32_e32 v24, v12, v23
	v_cvt_f32_f16_e32 v12, v22
	v_cndmask_b32_e64 v4, 0, 1, s0
	v_cmp_ne_u32_e64 s0, 0, v6
	v_lshrrev_b32_e32 v22, 8, v7
	v_lshrrev_b32_e32 v7, 16, v7
	v_cvt_f64_f32_e32 v[12:13], v12
	v_lshl_or_b32 v4, v4, 9, 0x7c00
	v_cndmask_b32_e64 v6, 0, 1, s0
	v_cmp_ne_u32_e64 s0, v24, v19
	v_and_or_b32 v6, 0xffe, v22, v6
	v_cndmask_b32_e64 v19, 0, 1, s0
	v_sub_nc_u32_e32 v22, 0x3f1, v25
	v_cmp_eq_u32_e64 s0, 0x40f, v20
	v_or_b32_e32 v24, 0x1000, v6
	v_or_b32_e32 v19, v23, v19
	v_lshl_or_b32 v23, v21, 12, v10
	v_med3_i32 v22, v22, 0, 13
	v_cndmask_b32_e64 v4, v16, v4, s0
	v_cmp_gt_i32_e64 s0, 1, v21
	v_and_or_b32 v17, 0x8000, v5, v4
	v_cndmask_b32_e64 v16, v23, v19, s0
	v_lshrrev_b32_e32 v19, v22, v24
	v_mul_f64 v[4:5], v[12:13], s[4:5]
	v_mul_f16_sdwa v12, v73, v18 dst_sel:DWORD dst_unused:UNUSED_PAD src0_sel:WORD_1 src1_sel:DWORD
	v_add_co_u32 v8, s0, v8, s6
	v_lshlrev_b32_e32 v22, v22, v19
	v_and_b32_e32 v20, 7, v16
	v_add_co_ci_u32_e64 v9, s0, s7, v9, s0
	v_fma_f16 v12, v73, v14, -v12
	v_cmp_ne_u32_e64 s1, v22, v24
	v_cmp_lt_i32_e64 s0, 5, v20
	v_lshrrev_b32_e32 v14, 2, v16
	v_add_nc_u32_e32 v22, 0xfffffc10, v25
	v_cvt_f32_f16_e32 v12, v12
	v_cndmask_b32_e64 v13, 0, 1, s1
	v_cmp_eq_u32_e64 s1, 3, v20
	v_lshl_or_b32 v18, v17, 16, v15
	v_lshl_or_b32 v16, v22, 12, v6
	v_add_nc_u32_e32 v20, 0xa00, v65
	v_or_b32_e32 v15, v19, v13
	s_or_b32 s0, s1, s0
	v_cvt_f64_f32_e32 v[12:13], v12
	v_add_co_ci_u32_e64 v14, s0, 0, v14, s0
	v_cmp_ne_u32_e64 s0, 0, v10
	v_and_or_b32 v4, 0x1ff, v5, v4
	v_bfe_u32 v19, v5, 20, 11
	v_lshrrev_b32_e32 v23, 16, v11
	global_store_dword v[8:9], v1, off
	v_cndmask_b32_e64 v10, 0, 1, s0
	v_cmp_gt_i32_e64 s0, 1, v22
	v_lshl_or_b32 v10, v10, 9, 0x7c00
	v_cndmask_b32_e64 v16, v16, v15, s0
	v_cmp_gt_i32_e64 s0, 31, v21
	v_lshrrev_b32_e32 v15, 8, v5
	v_lshrrev_b32_e32 v5, 16, v5
	v_and_b32_e32 v17, 7, v16
	v_cndmask_b32_e64 v14, 0x7c00, v14, s0
	v_cmp_ne_u32_e64 s0, 0, v4
	v_mul_f64 v[12:13], v[12:13], s[4:5]
	v_lshrrev_b32_e32 v16, 2, v16
	v_cmp_eq_u32_e64 s1, 3, v17
	v_cndmask_b32_e64 v4, 0, 1, s0
	v_cmp_eq_u32_e64 s0, 0x40f, v21
	v_and_or_b32 v4, 0xffe, v15, v4
	v_cndmask_b32_e64 v21, v14, v10, s0
	v_sub_nc_u32_e32 v10, 0x3f1, v19
	ds_read2_b32 v[14:15], v20 offset0:74 offset1:142
	v_cmp_lt_i32_e64 s0, 5, v17
	v_or_b32_e32 v17, 0x1000, v4
	v_and_or_b32 v21, 0x8000, v23, v21
	v_med3_i32 v20, v10, 0, 13
	v_add_nc_u32_e32 v19, 0xfffffc10, v19
	s_or_b32 s0, s1, s0
	v_add_co_ci_u32_e64 v16, s0, 0, v16, s0
	v_lshrrev_b32_e32 v24, v20, v17
	v_add_co_u32 v10, s0, v8, s8
	v_add_co_ci_u32_e64 v11, s0, s9, v9, s0
	v_lshlrev_b32_e32 v20, v20, v24
	v_cmp_gt_i32_e64 s0, 31, v22
	v_and_or_b32 v12, 0x1ff, v13, v12
	v_bfe_u32 v26, v13, 20, 11
	v_and_b32_e32 v21, 0xffff, v21
	s_waitcnt lgkmcnt(0)
	v_lshrrev_b32_e32 v25, 16, v14
	v_cndmask_b32_e64 v23, 0x7c00, v16, s0
	v_cmp_ne_u32_e64 s0, v20, v17
	v_lshl_or_b32 v20, v19, 12, v4
	global_store_dword v[10:11], v18, off
	v_mul_f16_sdwa v17, v72, v25 dst_sel:DWORD dst_unused:UNUSED_PAD src0_sel:WORD_1 src1_sel:DWORD
	v_cndmask_b32_e64 v16, 0, 1, s0
	v_cmp_ne_u32_e64 s0, 0, v6
	v_fmac_f16_e32 v17, v72, v14
	v_mul_f16_sdwa v14, v72, v14 dst_sel:DWORD dst_unused:UNUSED_PAD src0_sel:WORD_1 src1_sel:DWORD
	v_or_b32_e32 v16, v24, v16
	v_cndmask_b32_e64 v6, 0, 1, s0
	v_cmp_ne_u32_e64 s0, 0, v12
	v_lshrrev_b32_e32 v24, 8, v13
	v_cvt_f32_f16_e32 v17, v17
	v_lshrrev_b32_e32 v13, 16, v13
	v_lshl_or_b32 v6, v6, 9, 0x7c00
	v_cndmask_b32_e64 v12, 0, 1, s0
	v_cmp_gt_i32_e64 s0, 1, v19
	v_and_or_b32 v12, 0xffe, v24, v12
	v_sub_nc_u32_e32 v24, 0x3f1, v26
	v_cndmask_b32_e64 v20, v20, v16, s0
	v_cvt_f64_f32_e32 v[16:17], v17
	v_cmp_eq_u32_e64 s0, 0x40f, v22
	v_or_b32_e32 v32, 0x1000, v12
	v_med3_i32 v24, v24, 0, 13
	v_and_b32_e32 v27, 7, v20
	v_cndmask_b32_e64 v6, v23, v6, s0
	v_lshrrev_b32_e32 v22, v24, v32
	v_cmp_lt_i32_e64 s0, 5, v27
	v_cmp_eq_u32_e64 s1, 3, v27
	v_and_or_b32 v23, 0x8000, v7, v6
	v_lshrrev_b32_e32 v6, 2, v20
	v_fma_f16 v7, v72, v25, -v14
	v_lshlrev_b32_e32 v14, v24, v22
	s_or_b32 s0, s1, s0
	v_add_nc_u32_e32 v25, 0xfffffc10, v26
	v_add_co_ci_u32_e64 v20, s0, 0, v6, s0
	v_cmp_ne_u32_e64 s0, v14, v32
	v_cvt_f32_f16_e32 v24, v7
	v_lshl_or_b32 v18, v23, 16, v21
	v_mul_f64 v[6:7], v[16:17], s[4:5]
	v_cndmask_b32_e64 v14, 0, 1, s0
	v_cmp_ne_u32_e64 s0, 0, v4
	v_cvt_f64_f32_e32 v[16:17], v24
	v_or_b32_e32 v14, v22, v14
	v_cndmask_b32_e64 v4, 0, 1, s0
	v_cmp_gt_i32_e64 s0, 31, v19
	v_lshl_or_b32 v22, v25, 12, v12
	v_lshl_or_b32 v4, v4, 9, 0x7c00
	v_cndmask_b32_e64 v20, 0x7c00, v20, s0
	v_cmp_gt_i32_e64 s0, 1, v25
	v_cndmask_b32_e64 v14, v22, v14, s0
	v_cmp_eq_u32_e64 s0, 0x40f, v19
	v_and_or_b32 v8, 0x1ff, v7, v6
	v_lshrrev_b32_e32 v9, 8, v7
	v_and_b32_e32 v1, 7, v14
	v_cndmask_b32_e64 v19, v20, v4, s0
	ds_read2_b32 v[3:4], v3 offset0:16 offset1:84
	v_cmp_ne_u32_e64 s2, 0, v8
	v_cmp_lt_i32_e64 s0, 5, v1
	v_and_or_b32 v19, 0x8000, v5, v19
	v_mul_f64 v[5:6], v[16:17], s[4:5]
	v_cmp_eq_u32_e64 s1, 3, v1
	v_lshrrev_b32_e32 v1, 2, v14
	v_cndmask_b32_e64 v8, 0, 1, s2
	v_bfe_u32 v14, v7, 20, 11
	s_or_b32 s0, s1, s0
	v_add_co_ci_u32_e64 v1, s0, 0, v1, s0
	v_and_or_b32 v20, 0xffe, v9, v8
	v_sub_nc_u32_e32 v8, 0x3f1, v14
	v_cmp_ne_u32_e64 s0, 0, v12
	v_add_nc_u32_e32 v14, 0xfffffc10, v14
	s_waitcnt lgkmcnt(0)
	v_lshrrev_b32_e32 v16, 16, v3
	v_or_b32_e32 v12, 0x1000, v20
	v_cndmask_b32_e64 v9, 0, 1, s0
	v_med3_i32 v8, v8, 0, 13
	v_cmp_gt_i32_e64 s0, 31, v25
	v_mul_f16_sdwa v17, v71, v16 dst_sel:DWORD dst_unused:UNUSED_PAD src0_sel:WORD_1 src1_sel:DWORD
	v_lshl_or_b32 v9, v9, 9, 0x7c00
	v_lshrrev_b32_e32 v21, v8, v12
	v_cndmask_b32_e64 v1, 0x7c00, v1, s0
	v_and_or_b32 v5, 0x1ff, v6, v5
	v_cmp_eq_u32_e64 s0, 0x40f, v25
	v_fmac_f16_e32 v17, v71, v3
	v_lshlrev_b32_e32 v22, v8, v21
	v_bfe_u32 v23, v6, 20, 11
	v_mul_f16_sdwa v3, v71, v3 dst_sel:DWORD dst_unused:UNUSED_PAD src0_sel:WORD_1 src1_sel:DWORD
	v_cndmask_b32_e64 v1, v1, v9, s0
	v_cmp_ne_u32_e64 s0, 0, v5
	v_cvt_f32_f16_e32 v8, v17
	v_lshrrev_b32_e32 v17, 8, v6
	v_fma_f16 v3, v71, v16, -v3
	v_and_or_b32 v1, 0x8000, v13, v1
	v_cndmask_b32_e64 v5, 0, 1, s0
	v_cmp_ne_u32_e64 s0, v22, v12
	v_cvt_f64_f32_e32 v[8:9], v8
	v_and_b32_e32 v13, 0xffff, v19
	v_cvt_f32_f16_e32 v3, v3
	v_and_or_b32 v5, 0xffe, v17, v5
	v_cndmask_b32_e64 v12, 0, 1, s0
	v_sub_nc_u32_e32 v17, 0x3f1, v23
	v_cmp_gt_i32_e64 s0, 1, v14
	v_lshl_or_b32 v1, v1, 16, v13
	v_or_b32_e32 v22, 0x1000, v5
	v_or_b32_e32 v12, v21, v12
	v_lshl_or_b32 v21, v14, 12, v20
	v_med3_i32 v17, v17, 0, 13
	v_cndmask_b32_e64 v19, v21, v12, s0
	v_lshrrev_b32_e32 v21, v17, v22
	v_add_co_u32 v10, s0, v10, s6
	v_add_co_ci_u32_e64 v11, s0, s7, v11, s0
	v_lshlrev_b32_e32 v17, v17, v21
	v_and_b32_e32 v24, 7, v19
	v_mul_f64 v[8:9], v[8:9], s[4:5]
	v_add_co_u32 v12, s0, v10, s8
	v_cmp_ne_u32_e64 s1, v17, v22
	v_add_co_ci_u32_e64 v13, s0, s9, v11, s0
	v_cmp_lt_i32_e64 s0, 5, v24
	v_lshrrev_b32_e32 v19, 2, v19
	v_cndmask_b32_e64 v16, 0, 1, s1
	v_cmp_eq_u32_e64 s1, 3, v24
	v_add_nc_u32_e32 v22, 0xfffffc10, v23
	global_store_dword v[10:11], v18, off
	global_store_dword v[12:13], v1, off
	v_or_b32_e32 v21, v21, v16
	s_or_b32 s0, s1, s0
	v_cvt_f64_f32_e32 v[16:17], v3
	v_add_co_ci_u32_e64 v3, s0, 0, v19, s0
	v_cmp_ne_u32_e64 s0, 0, v20
	v_lshl_or_b32 v23, v22, 12, v5
	v_and_or_b32 v8, 0x1ff, v9, v8
	v_cndmask_b32_e64 v19, 0, 1, s0
	v_cmp_gt_i32_e64 s0, 1, v22
	v_bfe_u32 v24, v9, 20, 11
	v_lshl_or_b32 v19, v19, 9, 0x7c00
	v_cndmask_b32_e64 v20, v23, v21, s0
	v_cmp_gt_i32_e64 s0, 31, v14
	v_lshrrev_b32_e32 v23, 8, v9
	v_lshrrev_b32_e32 v9, 16, v9
	v_and_b32_e32 v21, 7, v20
	v_cndmask_b32_e64 v3, 0x7c00, v3, s0
	v_cmp_ne_u32_e64 s0, 0, v8
	v_cmp_eq_u32_e64 s1, 3, v21
	v_cndmask_b32_e64 v8, 0, 1, s0
	v_cmp_eq_u32_e64 s0, 0x40f, v14
	v_lshrrev_b32_e32 v14, 16, v7
	v_cndmask_b32_e64 v3, v3, v19, s0
	v_cmp_lt_i32_e64 s0, 5, v21
	v_and_or_b32 v19, 0xffe, v23, v8
	v_mul_f64 v[7:8], v[16:17], s[4:5]
	v_lshrrev_b32_e32 v17, 2, v20
	v_sub_nc_u32_e32 v23, 0x3f1, v24
	s_or_b32 s0, s1, s0
	v_or_b32_e32 v20, 0x1000, v19
	v_lshrrev_b32_e32 v16, 16, v15
	v_add_co_ci_u32_e64 v17, s0, 0, v17, s0
	v_med3_i32 v21, v23, 0, 13
	v_cmp_ne_u32_e64 s0, 0, v5
	v_mul_f16_sdwa v23, v70, v16 dst_sel:DWORD dst_unused:UNUSED_PAD src0_sel:WORD_1 src1_sel:DWORD
	v_and_or_b32 v3, 0x8000, v14, v3
	v_lshrrev_b32_e32 v25, v21, v20
	v_cndmask_b32_e64 v5, 0, 1, s0
	v_cmp_gt_i32_e64 s0, 31, v22
	v_fmac_f16_e32 v23, v70, v15
	v_and_b32_e32 v3, 0xffff, v3
	v_lshlrev_b32_e32 v14, v21, v25
	v_lshl_or_b32 v5, v5, 9, 0x7c00
	v_cndmask_b32_e64 v17, 0x7c00, v17, s0
	v_cmp_eq_u32_e64 s0, 0x40f, v22
	v_and_or_b32 v7, 0x1ff, v8, v7
	v_cvt_f32_f16_e32 v21, v23
	v_lshrrev_b32_e32 v22, 16, v6
	v_bfe_u32 v23, v8, 20, 11
	v_cndmask_b32_e64 v17, v17, v5, s0
	v_cmp_ne_u32_e64 s0, v14, v20
	v_cvt_f64_f32_e32 v[5:6], v21
	v_add_nc_u32_e32 v20, 0xfffffc10, v24
	v_lshrrev_b32_e32 v21, 8, v8
	v_and_or_b32 v17, 0x8000, v22, v17
	v_cndmask_b32_e64 v14, 0, 1, s0
	v_cmp_ne_u32_e64 s0, 0, v7
	v_lshl_or_b32 v22, v20, 12, v19
	v_lshl_or_b32 v1, v17, 16, v3
	v_or_b32_e32 v14, v25, v14
	v_cndmask_b32_e64 v7, 0, 1, s0
	v_cmp_gt_i32_e64 s0, 1, v20
	v_and_or_b32 v7, 0xffe, v21, v7
	v_sub_nc_u32_e32 v21, 0x3f1, v23
	v_cndmask_b32_e64 v14, v22, v14, s0
	v_add_co_u32 v10, s0, v12, s6
	v_or_b32_e32 v22, 0x1000, v7
	v_med3_i32 v21, v21, 0, 13
	v_and_b32_e32 v3, 7, v14
	v_mul_f64 v[5:6], v[5:6], s[4:5]
	v_add_co_ci_u32_e64 v11, s0, s7, v13, s0
	v_lshrrev_b32_e32 v17, v21, v22
	v_mul_f16_sdwa v13, v70, v15 dst_sel:DWORD dst_unused:UNUSED_PAD src0_sel:WORD_1 src1_sel:DWORD
	v_cmp_lt_i32_e64 s0, 5, v3
	v_cmp_eq_u32_e64 s1, 3, v3
	v_lshrrev_b32_e32 v3, 2, v14
	v_lshlrev_b32_e32 v12, v21, v17
	v_fma_f16 v13, v70, v16, -v13
	v_add_nc_u32_e32 v14, 0xfffffc10, v23
	s_or_b32 s0, s1, s0
	global_store_dword v[10:11], v1, off
	v_cmp_ne_u32_e64 s2, v12, v22
	v_add_co_ci_u32_e64 v3, s0, 0, v3, s0
	v_cvt_f32_f16_e32 v13, v13
	v_cmp_ne_u32_e64 s0, 0, v19
	v_cndmask_b32_e64 v12, 0, 1, s2
	v_lshl_or_b32 v16, v14, 12, v7
	v_and_or_b32 v5, 0x1ff, v6, v5
	v_or_b32_e32 v15, v17, v12
	v_cvt_f64_f32_e32 v[12:13], v13
	v_cndmask_b32_e64 v17, 0, 1, s0
	v_cmp_gt_i32_e64 s0, 1, v14
	v_lshrrev_b32_e32 v18, 8, v6
	v_bfe_u32 v19, v6, 20, 11
	v_lshrrev_b32_e32 v6, 16, v6
	v_cndmask_b32_e64 v15, v16, v15, s0
	v_cmp_gt_i32_e64 s0, 31, v20
	v_lshl_or_b32 v16, v17, 9, 0x7c00
	v_and_b32_e32 v17, 7, v15
	v_cndmask_b32_e64 v3, 0x7c00, v3, s0
	v_cmp_ne_u32_e64 s0, 0, v5
	v_lshrrev_b32_e32 v15, 2, v15
	v_cmp_eq_u32_e64 s1, 3, v17
	v_cndmask_b32_e64 v5, 0, 1, s0
	v_cmp_eq_u32_e64 s0, 0x40f, v20
	v_mul_f64 v[12:13], v[12:13], s[4:5]
	v_and_or_b32 v5, 0xffe, v18, v5
	v_cndmask_b32_e64 v3, v3, v16, s0
	v_cmp_lt_i32_e64 s0, 5, v17
	v_sub_nc_u32_e32 v16, 0x3f1, v19
	v_lshrrev_b32_e32 v18, 16, v4
	v_or_b32_e32 v17, 0x1000, v5
	v_and_or_b32 v3, 0x8000, v9, v3
	s_or_b32 s0, s1, s0
	v_med3_i32 v16, v16, 0, 13
	v_add_co_ci_u32_e64 v15, s0, 0, v15, s0
	v_cmp_ne_u32_e64 s0, 0, v7
	v_mul_f16_sdwa v21, v69, v18 dst_sel:DWORD dst_unused:UNUSED_PAD src0_sel:WORD_1 src1_sel:DWORD
	v_lshrrev_b32_e32 v20, v16, v17
	v_and_b32_e32 v3, 0xffff, v3
	v_cndmask_b32_e64 v7, 0, 1, s0
	v_cmp_gt_i32_e64 s0, 31, v14
	v_lshlrev_b32_e32 v9, v16, v20
	v_fmac_f16_e32 v21, v69, v4
	v_and_or_b32 v12, 0x1ff, v13, v12
	v_lshl_or_b32 v7, v7, 9, 0x7c00
	v_cndmask_b32_e64 v15, 0x7c00, v15, s0
	v_cmp_eq_u32_e64 s0, 0x40f, v14
	v_add_nc_u32_e32 v16, 0xfffffc10, v19
	v_bfe_u32 v19, v13, 20, 11
	v_mul_f16_sdwa v4, v69, v4 dst_sel:DWORD dst_unused:UNUSED_PAD src0_sel:WORD_1 src1_sel:DWORD
	v_cndmask_b32_e64 v14, v15, v7, s0
	v_cmp_ne_u32_e64 s0, v9, v17
	v_cvt_f32_f16_e32 v7, v21
	v_lshrrev_b32_e32 v15, 16, v8
	v_lshrrev_b32_e32 v17, 8, v13
	v_fma_f16 v4, v69, v18, -v4
	v_cndmask_b32_e64 v9, 0, 1, s0
	v_cmp_ne_u32_e64 s0, 0, v12
	v_cvt_f64_f32_e32 v[7:8], v7
	v_and_or_b32 v14, 0x8000, v15, v14
	v_lshl_or_b32 v15, v16, 12, v5
	v_or_b32_e32 v9, v20, v9
	v_cndmask_b32_e64 v12, 0, 1, s0
	v_cmp_gt_i32_e64 s0, 1, v16
	v_lshl_or_b32 v1, v14, 16, v3
	v_lshrrev_b32_e32 v13, 16, v13
	v_and_or_b32 v12, 0xffe, v17, v12
	v_cndmask_b32_e64 v15, v15, v9, s0
	v_sub_nc_u32_e32 v9, 0x3f1, v19
	v_or_b32_e32 v14, 0x1000, v12
	v_and_b32_e32 v3, 7, v15
	v_med3_i32 v17, v9, 0, 13
	v_add_co_u32 v9, s0, v10, s8
	v_add_co_ci_u32_e64 v10, s0, s9, v11, s0
	v_lshrrev_b32_e32 v11, v17, v14
	v_cmp_lt_i32_e64 s0, 5, v3
	v_cmp_eq_u32_e64 s1, 3, v3
	v_mul_f64 v[7:8], v[7:8], s[4:5]
	global_store_dword v[9:10], v1, off
	v_lshrrev_b32_e32 v1, 2, v15
	v_lshlrev_b32_e32 v3, v17, v11
	s_or_b32 s0, s1, s0
	v_add_nc_u32_e32 v17, 0xfffffc10, v19
	v_add_co_u32 v9, s2, v9, s6
	v_add_co_ci_u32_e64 v15, s0, 0, v1, s0
	v_cmp_ne_u32_e64 s0, v3, v14
	v_cvt_f32_f16_e32 v3, v4
	ds_read2_b32 v[1:2], v2 offset0:82 offset1:150
	v_add_co_ci_u32_e64 v10, s2, s7, v10, s2
	v_cndmask_b32_e64 v14, 0, 1, s0
	v_cmp_ne_u32_e64 s0, 0, v5
	v_cvt_f64_f32_e32 v[3:4], v3
	v_or_b32_e32 v11, v11, v14
	v_cndmask_b32_e64 v5, 0, 1, s0
	v_cmp_gt_i32_e64 s0, 31, v16
	v_lshl_or_b32 v14, v17, 12, v12
	v_and_or_b32 v7, 0x1ff, v8, v7
	v_bfe_u32 v18, v8, 20, 11
	v_lshl_or_b32 v5, v5, 9, 0x7c00
	v_cndmask_b32_e64 v15, 0x7c00, v15, s0
	v_cmp_gt_i32_e64 s0, 1, v17
	v_cndmask_b32_e64 v11, v14, v11, s0
	v_cmp_ne_u32_e64 s0, 0, v7
	v_lshrrev_b32_e32 v14, 8, v8
	v_lshrrev_b32_e32 v8, 16, v8
	v_cndmask_b32_e64 v7, 0, 1, s0
	v_cmp_eq_u32_e64 s0, 0x40f, v16
	s_waitcnt lgkmcnt(0)
	v_lshrrev_b32_e32 v16, 16, v1
	v_mul_f64 v[3:4], v[3:4], s[4:5]
	v_and_or_b32 v7, 0xffe, v14, v7
	v_cndmask_b32_e64 v5, v15, v5, s0
	v_and_b32_e32 v15, 7, v11
	v_sub_nc_u32_e32 v14, 0x3f1, v18
	v_mul_f16_sdwa v20, v68, v16 dst_sel:DWORD dst_unused:UNUSED_PAD src0_sel:WORD_1 src1_sel:DWORD
	v_or_b32_e32 v19, 0x1000, v7
	v_cmp_lt_i32_e64 s0, 5, v15
	v_cmp_eq_u32_e64 s1, 3, v15
	v_and_or_b32 v15, 0x8000, v6, v5
	v_lshrrev_b32_e32 v5, 2, v11
	v_med3_i32 v14, v14, 0, 13
	v_fmac_f16_e32 v20, v68, v1
	s_or_b32 s0, s1, s0
	v_and_b32_e32 v15, 0xffff, v15
	v_add_co_ci_u32_e64 v5, s0, 0, v5, s0
	v_lshrrev_b32_e32 v11, v14, v19
	v_cmp_ne_u32_e64 s0, 0, v12
	v_cvt_f32_f16_e32 v12, v20
	v_and_or_b32 v3, 0x1ff, v4, v3
	v_mul_f16_sdwa v1, v68, v1 dst_sel:DWORD dst_unused:UNUSED_PAD src0_sel:WORD_1 src1_sel:DWORD
	v_lshlrev_b32_e32 v14, v14, v11
	v_cndmask_b32_e64 v6, 0, 1, s0
	v_cmp_gt_i32_e64 s0, 31, v17
	v_fma_f16 v1, v68, v16, -v1
	v_lshl_or_b32 v21, v6, 9, 0x7c00
	v_cndmask_b32_e64 v20, 0x7c00, v5, s0
	v_cmp_ne_u32_e64 s0, v14, v19
	v_cvt_f64_f32_e32 v[5:6], v12
	v_add_nc_u32_e32 v14, 0xfffffc10, v18
	v_lshrrev_b32_e32 v18, 8, v4
	v_bfe_u32 v19, v4, 20, 11
	v_cndmask_b32_e64 v12, 0, 1, s0
	v_cmp_eq_u32_e64 s0, 0x40f, v17
	v_cvt_f32_f16_e32 v1, v1
	v_or_b32_e32 v11, v11, v12
	v_cndmask_b32_e64 v17, v20, v21, s0
	v_cmp_ne_u32_e64 s0, 0, v3
	v_lshl_or_b32 v12, v14, 12, v7
	v_cndmask_b32_e64 v3, 0, 1, s0
	v_cmp_gt_i32_e64 s0, 1, v14
	v_and_or_b32 v3, 0xffe, v18, v3
	v_cndmask_b32_e64 v11, v12, v11, s0
	v_and_or_b32 v12, 0x8000, v13, v17
	v_sub_nc_u32_e32 v13, 0x3f1, v19
	v_mul_f64 v[5:6], v[5:6], s[4:5]
	v_or_b32_e32 v18, 0x1000, v3
	v_and_b32_e32 v17, 7, v11
	v_lshrrev_b32_e32 v11, 2, v11
	v_med3_i32 v13, v13, 0, 13
	v_lshl_or_b32 v15, v12, 16, v15
	v_cmp_lt_i32_e64 s0, 5, v17
	v_cmp_eq_u32_e64 s1, 3, v17
	v_lshrrev_b32_e32 v17, v13, v18
	s_or_b32 s0, s1, s0
	v_lshlrev_b32_e32 v12, v13, v17
	v_add_co_ci_u32_e64 v13, s0, 0, v11, s0
	v_cmp_ne_u32_e64 s0, v12, v18
	v_cvt_f64_f32_e32 v[11:12], v1
	v_add_nc_u32_e32 v1, 0xfffffc10, v19
	v_and_or_b32 v5, 0x1ff, v6, v5
	v_lshrrev_b32_e32 v18, 8, v6
	v_cndmask_b32_e64 v16, 0, 1, s0
	v_cmp_gt_i32_e64 s0, 31, v14
	v_bfe_u32 v19, v6, 20, 11
	v_or_b32_e32 v16, v17, v16
	v_cndmask_b32_e64 v13, 0x7c00, v13, s0
	v_cmp_ne_u32_e64 s0, 0, v5
	v_lshl_or_b32 v17, v1, 12, v3
	v_cndmask_b32_e64 v5, 0, 1, s0
	v_cmp_ne_u32_e64 s0, 0, v7
	v_and_or_b32 v5, 0xffe, v18, v5
	v_cndmask_b32_e64 v7, 0, 1, s0
	v_cmp_gt_i32_e64 s0, 1, v1
	v_lshrrev_b32_e32 v18, 16, v0
	v_mul_f64 v[11:12], v[11:12], s[4:5]
	v_or_b32_e32 v21, 0x1000, v5
	v_lshl_or_b32 v7, v7, 9, 0x7c00
	v_cndmask_b32_e64 v16, v17, v16, s0
	v_sub_nc_u32_e32 v17, 0x3f1, v19
	v_cmp_eq_u32_e64 s0, 0x40f, v14
	v_mul_f16_sdwa v22, v67, v18 dst_sel:DWORD dst_unused:UNUSED_PAD src0_sel:WORD_1 src1_sel:DWORD
	v_add_nc_u32_e32 v19, 0xfffffc10, v19
	v_and_b32_e32 v20, 7, v16
	v_med3_i32 v17, v17, 0, 13
	v_cndmask_b32_e64 v7, v13, v7, s0
	v_fmac_f16_e32 v22, v67, v0
	v_mul_f16_sdwa v0, v67, v0 dst_sel:DWORD dst_unused:UNUSED_PAD src0_sel:WORD_1 src1_sel:DWORD
	v_cmp_lt_i32_e64 s0, 5, v20
	v_lshrrev_b32_e32 v13, v17, v21
	v_cmp_eq_u32_e64 s1, 3, v20
	v_and_or_b32 v14, 0x8000, v8, v7
	v_lshrrev_b32_e32 v7, 2, v16
	v_cvt_f32_f16_e32 v16, v22
	v_lshlrev_b32_e32 v8, v17, v13
	s_or_b32 s0, s1, s0
	v_and_b32_e32 v14, 0xffff, v14
	v_add_co_ci_u32_e64 v17, s0, 0, v7, s0
	v_cmp_ne_u32_e64 s0, v8, v21
	v_cvt_f64_f32_e32 v[7:8], v16
	v_lshl_or_b32 v16, v19, 12, v5
	v_and_or_b32 v11, 0x1ff, v12, v11
	v_fma_f16 v0, v67, v18, -v0
	v_cndmask_b32_e64 v20, 0, 1, s0
	v_cmp_ne_u32_e64 s0, 0, v3
	v_lshrrev_b32_e32 v18, 16, v2
	v_cvt_f32_f16_e32 v0, v0
	v_or_b32_e32 v13, v13, v20
	v_cndmask_b32_e64 v3, 0, 1, s0
	v_cmp_gt_i32_e64 s0, 31, v1
	v_bfe_u32 v20, v12, 20, 11
	v_mul_f16_sdwa v22, v66, v18 dst_sel:DWORD dst_unused:UNUSED_PAD src0_sel:WORD_1 src1_sel:DWORD
	v_lshl_or_b32 v3, v3, 9, 0x7c00
	v_cndmask_b32_e64 v17, 0x7c00, v17, s0
	v_cmp_gt_i32_e64 s0, 1, v19
	v_fmac_f16_e32 v22, v66, v2
	v_mul_f16_sdwa v2, v66, v2 dst_sel:DWORD dst_unused:UNUSED_PAD src0_sel:WORD_1 src1_sel:DWORD
	v_cndmask_b32_e64 v13, v16, v13, s0
	v_cmp_ne_u32_e64 s0, 0, v11
	v_lshrrev_b32_e32 v16, 8, v12
	v_fma_f16 v2, v66, v18, -v2
	v_lshrrev_b32_e32 v12, 16, v12
	v_and_b32_e32 v21, 7, v13
	v_cndmask_b32_e64 v11, 0, 1, s0
	v_cmp_eq_u32_e64 s0, 0x40f, v1
	v_lshrrev_b32_e32 v13, 2, v13
	v_cvt_f32_f16_e32 v2, v2
	v_cmp_eq_u32_e64 s1, 3, v21
	v_and_or_b32 v11, 0xffe, v16, v11
	v_sub_nc_u32_e32 v16, 0x3f1, v20
	v_cndmask_b32_e64 v1, v17, v3, s0
	v_cmp_lt_i32_e64 s0, 5, v21
	v_lshrrev_b32_e32 v17, 16, v4
	v_mul_f64 v[3:4], v[7:8], s[4:5]
	v_or_b32_e32 v7, 0x1000, v11
	v_med3_i32 v8, v16, 0, 13
	s_or_b32 s0, s1, s0
	v_and_or_b32 v1, 0x8000, v17, v1
	v_add_co_ci_u32_e64 v13, s0, 0, v13, s0
	v_lshrrev_b32_e32 v16, v8, v7
	v_cmp_ne_u32_e64 s0, 0, v5
	v_lshl_or_b32 v14, v1, 16, v14
	v_lshlrev_b32_e32 v1, v8, v16
	v_cndmask_b32_e64 v5, 0, 1, s0
	v_cmp_gt_i32_e64 s0, 31, v19
	v_lshl_or_b32 v5, v5, 9, 0x7c00
	v_cndmask_b32_e64 v8, 0x7c00, v13, s0
	v_cmp_ne_u32_e64 s0, v1, v7
	v_add_nc_u32_e32 v13, 0xfffffc10, v20
	v_and_or_b32 v3, 0x1ff, v4, v3
	v_bfe_u32 v17, v4, 20, 11
	v_cndmask_b32_e64 v1, 0, 1, s0
	v_cmp_eq_u32_e64 s0, 0x40f, v19
	v_lshrrev_b32_e32 v19, 16, v6
	v_cndmask_b32_e64 v7, v8, v5, s0
	v_cmp_ne_u32_e64 s0, 0, v3
	v_or_b32_e32 v5, v16, v1
	v_lshrrev_b32_e32 v16, 8, v4
	v_lshl_or_b32 v8, v13, 12, v11
	v_cvt_f64_f32_e32 v[0:1], v0
	v_cndmask_b32_e64 v3, 0, 1, s0
	v_cmp_gt_i32_e64 s0, 1, v13
	v_and_or_b32 v19, 0x8000, v19, v7
	v_lshrrev_b32_e32 v4, 16, v4
	v_and_or_b32 v16, 0xffe, v16, v3
	v_sub_nc_u32_e32 v3, 0x3f1, v17
	v_cndmask_b32_e64 v8, v8, v5, s0
	v_add_co_u32 v5, s0, v9, s8
	v_or_b32_e32 v21, 0x1000, v16
	v_med3_i32 v3, v3, 0, 13
	v_and_b32_e32 v20, 7, v8
	v_add_co_ci_u32_e64 v6, s0, s9, v10, s0
	v_lshrrev_b32_e32 v7, 2, v8
	v_lshrrev_b32_e32 v23, v3, v21
	v_cmp_lt_i32_e64 s0, 5, v20
	v_cmp_eq_u32_e64 s1, 3, v20
	v_cvt_f32_f16_e32 v8, v22
	v_add_nc_u32_e32 v17, 0xfffffc10, v17
	v_lshlrev_b32_e32 v3, v3, v23
	v_mul_f64 v[0:1], v[0:1], s[4:5]
	s_or_b32 s0, s1, s0
	v_add_co_ci_u32_e64 v20, s0, 0, v7, s0
	v_cmp_ne_u32_e64 s0, v3, v21
	v_cvt_f64_f32_e32 v[7:8], v8
	v_lshl_or_b32 v21, v17, 12, v16
	v_cndmask_b32_e64 v3, 0, 1, s0
	v_cmp_ne_u32_e64 s0, 0, v11
	v_or_b32_e32 v3, v23, v3
	v_cndmask_b32_e64 v11, 0, 1, s0
	v_cmp_gt_i32_e64 s0, 31, v13
	v_lshl_or_b32 v11, v11, 9, 0x7c00
	v_cndmask_b32_e64 v18, 0x7c00, v20, s0
	v_cmp_gt_i32_e64 s0, 1, v17
	v_and_or_b32 v0, 0x1ff, v1, v0
	v_cndmask_b32_e64 v20, v21, v3, s0
	v_cmp_eq_u32_e64 s0, 0x40f, v13
	v_mul_f64 v[7:8], v[7:8], s[4:5]
	v_cvt_f64_f32_e32 v[2:3], v2
	v_bfe_u32 v21, v1, 20, 11
	v_and_b32_e32 v13, 7, v20
	v_cndmask_b32_e64 v11, v18, v11, s0
	v_cmp_ne_u32_e64 s0, 0, v0
	v_lshrrev_b32_e32 v18, 8, v1
	v_lshrrev_b32_e32 v1, 16, v1
	v_cmp_eq_u32_e64 s1, 3, v13
	v_and_or_b32 v11, 0x8000, v12, v11
	v_and_b32_e32 v12, 0xffff, v19
	v_cndmask_b32_e64 v0, 0, 1, s0
	v_cmp_lt_i32_e64 s0, 5, v13
	v_lshl_or_b32 v11, v11, 16, v12
	v_lshrrev_b32_e32 v12, 2, v20
	v_and_or_b32 v0, 0xffe, v18, v0
	v_sub_nc_u32_e32 v18, 0x3f1, v21
	s_or_b32 s0, s1, s0
	v_add_co_ci_u32_e64 v12, s0, 0, v12, s0
	v_or_b32_e32 v13, 0x1000, v0
	v_med3_i32 v18, v18, 0, 13
	v_cmp_ne_u32_e64 s0, 0, v16
	v_and_or_b32 v7, 0x1ff, v8, v7
	v_mul_f64 v[2:3], v[2:3], s[4:5]
	v_lshrrev_b32_e32 v20, 8, v8
	v_lshrrev_b32_e32 v19, v18, v13
	v_cndmask_b32_e64 v16, 0, 1, s0
	v_cmp_gt_i32_e64 s0, 31, v17
	v_bfe_u32 v22, v8, 20, 11
	v_lshrrev_b32_e32 v8, 16, v8
	v_lshlrev_b32_e32 v18, v18, v19
	v_lshl_or_b32 v16, v16, 9, 0x7c00
	v_cndmask_b32_e64 v12, 0x7c00, v12, s0
	v_cmp_ne_u32_e64 s0, 0, v7
	v_cndmask_b32_e64 v7, 0, 1, s0
	v_cmp_ne_u32_e64 s0, v18, v13
	v_add_nc_u32_e32 v18, 0xfffffc10, v21
	v_and_or_b32 v7, 0xffe, v20, v7
	v_cndmask_b32_e64 v13, 0, 1, s0
	v_sub_nc_u32_e32 v20, 0x3f1, v22
	v_cmp_eq_u32_e64 s0, 0x40f, v17
	v_and_or_b32 v2, 0x1ff, v3, v2
	v_or_b32_e32 v17, 0x1000, v7
	v_or_b32_e32 v13, v19, v13
	v_med3_i32 v19, v20, 0, 13
	v_cndmask_b32_e64 v12, v12, v16, s0
	v_lshl_or_b32 v16, v18, 12, v0
	v_cmp_gt_i32_e64 s0, 1, v18
	v_lshrrev_b32_e32 v20, 8, v3
	v_bfe_u32 v21, v3, 20, 11
	v_and_or_b32 v4, 0x8000, v4, v12
	v_cndmask_b32_e64 v13, v16, v13, s0
	v_lshrrev_b32_e32 v16, v19, v17
	v_cmp_ne_u32_e64 s0, 0, v2
	v_sub_nc_u32_e32 v12, 0x3f1, v21
	v_and_b32_e32 v23, 7, v13
	v_lshlrev_b32_e32 v19, v19, v16
	v_cndmask_b32_e64 v2, 0, 1, s0
	v_lshrrev_b32_e32 v13, 2, v13
	v_med3_i32 v12, v12, 0, 13
	v_cmp_lt_i32_e64 s0, 5, v23
	v_cmp_ne_u32_e64 s1, v19, v17
	v_and_or_b32 v2, 0xffe, v20, v2
	v_add_nc_u32_e32 v20, 0xfffffc10, v22
	v_cndmask_b32_e64 v17, 0, 1, s1
	v_cmp_eq_u32_e64 s1, 3, v23
	v_or_b32_e32 v19, 0x1000, v2
	v_lshl_or_b32 v22, v20, 12, v7
	v_or_b32_e32 v16, v16, v17
	s_or_b32 s0, s1, s0
	v_lshrrev_b32_e32 v17, v12, v19
	v_add_co_ci_u32_e64 v13, s0, 0, v13, s0
	v_cmp_gt_i32_e64 s0, 1, v20
	v_lshlrev_b32_e32 v12, v12, v17
	v_cndmask_b32_e64 v16, v22, v16, s0
	v_cmp_ne_u32_e64 s0, 0, v0
	v_cndmask_b32_e64 v0, 0, 1, s0
	v_cmp_ne_u32_e64 s0, v12, v19
	v_add_nc_u32_e32 v19, 0xfffffc10, v21
	v_and_b32_e32 v21, 7, v16
	v_lshl_or_b32 v0, v0, 9, 0x7c00
	v_cndmask_b32_e64 v12, 0, 1, s0
	v_cmp_gt_i32_e64 s0, 31, v18
	v_cmp_gt_i32_e64 s2, 1, v19
	v_cmp_eq_u32_e64 s1, 3, v21
	v_or_b32_e32 v12, v17, v12
	v_lshl_or_b32 v17, v19, 12, v2
	v_cndmask_b32_e64 v13, 0x7c00, v13, s0
	v_cmp_lt_i32_e64 s0, 5, v21
	v_cndmask_b32_e64 v12, v17, v12, s2
	v_cmp_eq_u32_e64 s2, 0x40f, v18
	s_or_b32 s0, s1, s0
	v_cndmask_b32_e64 v0, v13, v0, s2
	v_lshrrev_b32_e32 v13, 2, v16
	v_and_b32_e32 v16, 7, v12
	v_lshrrev_b32_e32 v12, 2, v12
	v_cmp_gt_i32_e64 s2, 31, v20
	v_and_or_b32 v0, 0x8000, v1, v0
	v_add_co_ci_u32_e64 v13, s0, 0, v13, s0
	v_cmp_ne_u32_e64 s0, 0, v7
	v_cmp_eq_u32_e64 s1, 3, v16
	v_and_b32_e32 v1, 0xffff, v4
	v_cndmask_b32_e64 v13, 0x7c00, v13, s2
	v_cndmask_b32_e64 v7, 0, 1, s0
	v_cmp_lt_i32_e64 s0, 5, v16
	v_lshl_or_b32 v7, v7, 9, 0x7c00
	s_or_b32 s0, s1, s0
	v_add_co_ci_u32_e64 v12, s0, 0, v12, s0
	v_cmp_ne_u32_e64 s0, 0, v2
	v_cndmask_b32_e64 v2, 0, 1, s0
	v_cmp_eq_u32_e64 s0, 0x40f, v20
	v_lshl_or_b32 v2, v2, 9, 0x7c00
	v_cndmask_b32_e64 v7, v13, v7, s0
	v_cmp_gt_i32_e64 s0, 31, v19
	v_and_or_b32 v4, 0x8000, v8, v7
	v_cndmask_b32_e64 v12, 0x7c00, v12, s0
	v_cmp_eq_u32_e64 s0, 0x40f, v19
	v_lshrrev_b32_e32 v8, 16, v3
	v_cndmask_b32_e64 v7, v12, v2, s0
	v_add_co_u32 v2, s0, v5, s6
	v_add_co_ci_u32_e64 v3, s0, s7, v6, s0
	v_lshl_or_b32 v12, v0, 16, v1
	v_and_or_b32 v0, 0x8000, v8, v7
	v_and_b32_e32 v1, 0xffff, v4
	v_add_co_u32 v7, s0, v2, s8
	v_add_co_ci_u32_e64 v8, s0, s9, v3, s0
	v_lshl_or_b32 v4, v0, 16, v1
	v_add_co_u32 v0, s0, v7, s6
	v_add_co_ci_u32_e64 v1, s0, s7, v8, s0
	global_store_dword v[9:10], v15, off
	global_store_dword v[5:6], v14, off
	;; [unrolled: 1-line block ×5, first 2 shown]
	s_and_b32 exec_lo, exec_lo, vcc_lo
	s_cbranch_execz .LBB0_31
; %bb.30:
	global_load_dword v2, v[30:31], off offset:1904
	ds_read_b32 v3, v65 offset:1904
	ds_read_b32 v6, v65 offset:3944
	s_waitcnt lgkmcnt(1)
	v_lshrrev_b32_e32 v4, 16, v3
	s_waitcnt vmcnt(0)
	v_mul_f16_sdwa v5, v4, v2 dst_sel:DWORD dst_unused:UNUSED_PAD src0_sel:DWORD src1_sel:WORD_1
	v_mul_f16_sdwa v7, v3, v2 dst_sel:DWORD dst_unused:UNUSED_PAD src0_sel:DWORD src1_sel:WORD_1
	v_fmac_f16_e32 v5, v3, v2
	v_fma_f16 v2, v2, v4, -v7
	v_cvt_f32_f16_e32 v3, v5
	v_cvt_f32_f16_e32 v4, v2
	v_cvt_f64_f32_e32 v[2:3], v3
	v_cvt_f64_f32_e32 v[4:5], v4
	v_mul_f64 v[2:3], v[2:3], s[4:5]
	v_mul_f64 v[4:5], v[4:5], s[4:5]
	v_and_or_b32 v2, 0x1ff, v3, v2
	v_and_or_b32 v4, 0x1ff, v5, v4
	v_lshrrev_b32_e32 v7, 8, v3
	v_bfe_u32 v8, v3, 20, 11
	v_lshrrev_b32_e32 v9, 8, v5
	v_cmp_ne_u32_e32 vcc_lo, 0, v2
	v_bfe_u32 v10, v5, 20, 11
	v_lshrrev_b32_e32 v3, 16, v3
	v_sub_nc_u32_e32 v11, 0x3f1, v8
	v_add_nc_u32_e32 v8, 0xfffffc10, v8
	v_cndmask_b32_e64 v2, 0, 1, vcc_lo
	v_cmp_ne_u32_e32 vcc_lo, 0, v4
	v_lshrrev_b32_e32 v5, 16, v5
	v_and_or_b32 v2, 0xffe, v7, v2
	v_cndmask_b32_e64 v4, 0, 1, vcc_lo
	v_sub_nc_u32_e32 v7, 0x3f1, v10
	v_add_nc_u32_e32 v10, 0xfffffc10, v10
	v_and_or_b32 v4, 0xffe, v9, v4
	v_med3_i32 v9, v11, 0, 13
	v_or_b32_e32 v11, 0x1000, v2
	v_med3_i32 v7, v7, 0, 13
	v_or_b32_e32 v12, 0x1000, v4
	v_lshrrev_b32_e32 v13, v9, v11
	v_lshrrev_b32_e32 v14, v7, v12
	v_lshlrev_b32_e32 v9, v9, v13
	v_lshlrev_b32_e32 v7, v7, v14
	v_cmp_ne_u32_e32 vcc_lo, v9, v11
	v_lshl_or_b32 v11, v8, 12, v2
	v_cndmask_b32_e64 v9, 0, 1, vcc_lo
	v_cmp_ne_u32_e32 vcc_lo, v7, v12
	v_lshl_or_b32 v12, v10, 12, v4
	v_or_b32_e32 v9, v13, v9
	v_cndmask_b32_e64 v7, 0, 1, vcc_lo
	v_cmp_gt_i32_e32 vcc_lo, 1, v8
	v_or_b32_e32 v7, v14, v7
	v_cndmask_b32_e32 v9, v11, v9, vcc_lo
	v_cmp_gt_i32_e32 vcc_lo, 1, v10
	v_and_b32_e32 v11, 7, v9
	v_cndmask_b32_e32 v7, v12, v7, vcc_lo
	v_cmp_ne_u32_e32 vcc_lo, 0, v2
	v_lshrrev_b32_e32 v9, 2, v9
	v_cmp_eq_u32_e64 s0, 3, v11
	v_and_b32_e32 v12, 7, v7
	v_cndmask_b32_e64 v2, 0, 1, vcc_lo
	v_cmp_ne_u32_e32 vcc_lo, 0, v4
	v_lshrrev_b32_e32 v7, 2, v7
	v_cmp_lt_i32_e64 s1, 5, v12
	v_cmp_eq_u32_e64 s2, 3, v12
	v_cndmask_b32_e64 v4, 0, 1, vcc_lo
	v_cmp_lt_i32_e32 vcc_lo, 5, v11
	v_lshl_or_b32 v2, v2, 9, 0x7c00
	v_lshl_or_b32 v4, v4, 9, 0x7c00
	s_or_b32 vcc_lo, s0, vcc_lo
	v_add_co_ci_u32_e32 v9, vcc_lo, 0, v9, vcc_lo
	s_or_b32 vcc_lo, s2, s1
	v_add_co_ci_u32_e32 v7, vcc_lo, 0, v7, vcc_lo
	v_cmp_gt_i32_e32 vcc_lo, 31, v8
	v_cndmask_b32_e32 v9, 0x7c00, v9, vcc_lo
	v_cmp_gt_i32_e32 vcc_lo, 31, v10
	v_cndmask_b32_e32 v7, 0x7c00, v7, vcc_lo
	v_cmp_eq_u32_e32 vcc_lo, 0x40f, v8
	v_cndmask_b32_e32 v2, v9, v2, vcc_lo
	v_cmp_eq_u32_e32 vcc_lo, 0x40f, v10
	v_and_or_b32 v2, 0x8000, v3, v2
	v_cndmask_b32_e32 v4, v7, v4, vcc_lo
	v_add_co_u32 v0, vcc_lo, v0, s8
	v_add_co_ci_u32_e32 v1, vcc_lo, s9, v1, vcc_lo
	v_and_or_b32 v3, 0x8000, v5, v4
	v_and_b32_e32 v2, 0xffff, v2
	v_lshl_or_b32 v2, v3, 16, v2
	s_waitcnt lgkmcnt(0)
	v_lshrrev_b32_e32 v3, 16, v6
	global_store_dword v[0:1], v2, off
	global_load_dword v2, v[28:29], off offset:1896
	s_waitcnt vmcnt(0)
	v_mul_f16_sdwa v4, v3, v2 dst_sel:DWORD dst_unused:UNUSED_PAD src0_sel:DWORD src1_sel:WORD_1
	v_mul_f16_sdwa v5, v6, v2 dst_sel:DWORD dst_unused:UNUSED_PAD src0_sel:DWORD src1_sel:WORD_1
	v_fmac_f16_e32 v4, v6, v2
	v_fma_f16 v2, v2, v3, -v5
	v_cvt_f32_f16_e32 v3, v4
	v_cvt_f32_f16_e32 v4, v2
	v_cvt_f64_f32_e32 v[2:3], v3
	v_cvt_f64_f32_e32 v[4:5], v4
	v_mul_f64 v[2:3], v[2:3], s[4:5]
	v_mul_f64 v[4:5], v[4:5], s[4:5]
	v_and_or_b32 v2, 0x1ff, v3, v2
	v_and_or_b32 v4, 0x1ff, v5, v4
	v_lshrrev_b32_e32 v6, 8, v3
	v_bfe_u32 v7, v3, 20, 11
	v_lshrrev_b32_e32 v8, 8, v5
	v_cmp_ne_u32_e32 vcc_lo, 0, v2
	v_bfe_u32 v9, v5, 20, 11
	v_lshrrev_b32_e32 v3, 16, v3
	v_sub_nc_u32_e32 v10, 0x3f1, v7
	v_add_nc_u32_e32 v7, 0xfffffc10, v7
	v_cndmask_b32_e64 v2, 0, 1, vcc_lo
	v_cmp_ne_u32_e32 vcc_lo, 0, v4
	v_lshrrev_b32_e32 v5, 16, v5
	v_and_or_b32 v2, 0xffe, v6, v2
	v_cndmask_b32_e64 v4, 0, 1, vcc_lo
	v_sub_nc_u32_e32 v6, 0x3f1, v9
	v_add_nc_u32_e32 v9, 0xfffffc10, v9
	v_and_or_b32 v4, 0xffe, v8, v4
	v_med3_i32 v8, v10, 0, 13
	v_or_b32_e32 v10, 0x1000, v2
	v_med3_i32 v6, v6, 0, 13
	v_or_b32_e32 v11, 0x1000, v4
	v_lshrrev_b32_e32 v12, v8, v10
	v_lshrrev_b32_e32 v13, v6, v11
	v_lshlrev_b32_e32 v8, v8, v12
	v_lshlrev_b32_e32 v6, v6, v13
	v_cmp_ne_u32_e32 vcc_lo, v8, v10
	v_lshl_or_b32 v10, v7, 12, v2
	v_cndmask_b32_e64 v8, 0, 1, vcc_lo
	v_cmp_ne_u32_e32 vcc_lo, v6, v11
	v_lshl_or_b32 v11, v9, 12, v4
	v_or_b32_e32 v8, v12, v8
	v_cndmask_b32_e64 v6, 0, 1, vcc_lo
	v_cmp_gt_i32_e32 vcc_lo, 1, v7
	v_or_b32_e32 v6, v13, v6
	v_cndmask_b32_e32 v8, v10, v8, vcc_lo
	v_cmp_gt_i32_e32 vcc_lo, 1, v9
	v_and_b32_e32 v10, 7, v8
	v_cndmask_b32_e32 v6, v11, v6, vcc_lo
	v_cmp_ne_u32_e32 vcc_lo, 0, v2
	v_lshrrev_b32_e32 v8, 2, v8
	v_cmp_eq_u32_e64 s0, 3, v10
	v_and_b32_e32 v11, 7, v6
	v_cndmask_b32_e64 v2, 0, 1, vcc_lo
	v_cmp_ne_u32_e32 vcc_lo, 0, v4
	v_lshrrev_b32_e32 v6, 2, v6
	v_cmp_lt_i32_e64 s1, 5, v11
	v_cmp_eq_u32_e64 s2, 3, v11
	v_cndmask_b32_e64 v4, 0, 1, vcc_lo
	v_cmp_lt_i32_e32 vcc_lo, 5, v10
	v_lshl_or_b32 v2, v2, 9, 0x7c00
	v_lshl_or_b32 v4, v4, 9, 0x7c00
	s_or_b32 vcc_lo, s0, vcc_lo
	v_add_co_ci_u32_e32 v8, vcc_lo, 0, v8, vcc_lo
	s_or_b32 vcc_lo, s2, s1
	v_add_co_ci_u32_e32 v6, vcc_lo, 0, v6, vcc_lo
	v_cmp_gt_i32_e32 vcc_lo, 31, v7
	v_cndmask_b32_e32 v8, 0x7c00, v8, vcc_lo
	v_cmp_gt_i32_e32 vcc_lo, 31, v9
	v_cndmask_b32_e32 v6, 0x7c00, v6, vcc_lo
	v_cmp_eq_u32_e32 vcc_lo, 0x40f, v7
	v_cndmask_b32_e32 v2, v8, v2, vcc_lo
	v_cmp_eq_u32_e32 vcc_lo, 0x40f, v9
	v_and_or_b32 v2, 0x8000, v3, v2
	v_cndmask_b32_e32 v4, v6, v4, vcc_lo
	v_add_co_u32 v0, vcc_lo, v0, s6
	v_add_co_ci_u32_e32 v1, vcc_lo, s7, v1, vcc_lo
	v_and_or_b32 v3, 0x8000, v5, v4
	v_and_b32_e32 v2, 0xffff, v2
	v_lshl_or_b32 v2, v3, 16, v2
	global_store_dword v[0:1], v2, off
.LBB0_31:
	s_endpgm
	.section	.rodata,"a",@progbits
	.p2align	6, 0x0
	.amdhsa_kernel bluestein_single_back_len1020_dim1_half_op_CI_CI
		.amdhsa_group_segment_fixed_size 12240
		.amdhsa_private_segment_fixed_size 0
		.amdhsa_kernarg_size 104
		.amdhsa_user_sgpr_count 6
		.amdhsa_user_sgpr_private_segment_buffer 1
		.amdhsa_user_sgpr_dispatch_ptr 0
		.amdhsa_user_sgpr_queue_ptr 0
		.amdhsa_user_sgpr_kernarg_segment_ptr 1
		.amdhsa_user_sgpr_dispatch_id 0
		.amdhsa_user_sgpr_flat_scratch_init 0
		.amdhsa_user_sgpr_private_segment_size 0
		.amdhsa_wavefront_size32 1
		.amdhsa_uses_dynamic_stack 0
		.amdhsa_system_sgpr_private_segment_wavefront_offset 0
		.amdhsa_system_sgpr_workgroup_id_x 1
		.amdhsa_system_sgpr_workgroup_id_y 0
		.amdhsa_system_sgpr_workgroup_id_z 0
		.amdhsa_system_sgpr_workgroup_info 0
		.amdhsa_system_vgpr_workitem_id 0
		.amdhsa_next_free_vgpr 255
		.amdhsa_next_free_sgpr 16
		.amdhsa_reserve_vcc 1
		.amdhsa_reserve_flat_scratch 0
		.amdhsa_float_round_mode_32 0
		.amdhsa_float_round_mode_16_64 0
		.amdhsa_float_denorm_mode_32 3
		.amdhsa_float_denorm_mode_16_64 3
		.amdhsa_dx10_clamp 1
		.amdhsa_ieee_mode 1
		.amdhsa_fp16_overflow 0
		.amdhsa_workgroup_processor_mode 1
		.amdhsa_memory_ordered 1
		.amdhsa_forward_progress 0
		.amdhsa_shared_vgpr_count 0
		.amdhsa_exception_fp_ieee_invalid_op 0
		.amdhsa_exception_fp_denorm_src 0
		.amdhsa_exception_fp_ieee_div_zero 0
		.amdhsa_exception_fp_ieee_overflow 0
		.amdhsa_exception_fp_ieee_underflow 0
		.amdhsa_exception_fp_ieee_inexact 0
		.amdhsa_exception_int_div_zero 0
	.end_amdhsa_kernel
	.text
.Lfunc_end0:
	.size	bluestein_single_back_len1020_dim1_half_op_CI_CI, .Lfunc_end0-bluestein_single_back_len1020_dim1_half_op_CI_CI
                                        ; -- End function
	.section	.AMDGPU.csdata,"",@progbits
; Kernel info:
; codeLenInByte = 33628
; NumSgprs: 18
; NumVgprs: 255
; ScratchSize: 0
; MemoryBound: 0
; FloatMode: 240
; IeeeMode: 1
; LDSByteSize: 12240 bytes/workgroup (compile time only)
; SGPRBlocks: 2
; VGPRBlocks: 31
; NumSGPRsForWavesPerEU: 18
; NumVGPRsForWavesPerEU: 255
; Occupancy: 4
; WaveLimiterHint : 1
; COMPUTE_PGM_RSRC2:SCRATCH_EN: 0
; COMPUTE_PGM_RSRC2:USER_SGPR: 6
; COMPUTE_PGM_RSRC2:TRAP_HANDLER: 0
; COMPUTE_PGM_RSRC2:TGID_X_EN: 1
; COMPUTE_PGM_RSRC2:TGID_Y_EN: 0
; COMPUTE_PGM_RSRC2:TGID_Z_EN: 0
; COMPUTE_PGM_RSRC2:TIDIG_COMP_CNT: 0
	.text
	.p2alignl 6, 3214868480
	.fill 48, 4, 3214868480
	.type	__hip_cuid_486ad29ed701ffc7,@object ; @__hip_cuid_486ad29ed701ffc7
	.section	.bss,"aw",@nobits
	.globl	__hip_cuid_486ad29ed701ffc7
__hip_cuid_486ad29ed701ffc7:
	.byte	0                               ; 0x0
	.size	__hip_cuid_486ad29ed701ffc7, 1

	.ident	"AMD clang version 19.0.0git (https://github.com/RadeonOpenCompute/llvm-project roc-6.4.0 25133 c7fe45cf4b819c5991fe208aaa96edf142730f1d)"
	.section	".note.GNU-stack","",@progbits
	.addrsig
	.addrsig_sym __hip_cuid_486ad29ed701ffc7
	.amdgpu_metadata
---
amdhsa.kernels:
  - .args:
      - .actual_access:  read_only
        .address_space:  global
        .offset:         0
        .size:           8
        .value_kind:     global_buffer
      - .actual_access:  read_only
        .address_space:  global
        .offset:         8
        .size:           8
        .value_kind:     global_buffer
      - .actual_access:  read_only
        .address_space:  global
        .offset:         16
        .size:           8
        .value_kind:     global_buffer
      - .actual_access:  read_only
        .address_space:  global
        .offset:         24
        .size:           8
        .value_kind:     global_buffer
      - .actual_access:  read_only
        .address_space:  global
        .offset:         32
        .size:           8
        .value_kind:     global_buffer
      - .offset:         40
        .size:           8
        .value_kind:     by_value
      - .address_space:  global
        .offset:         48
        .size:           8
        .value_kind:     global_buffer
      - .address_space:  global
        .offset:         56
        .size:           8
        .value_kind:     global_buffer
      - .address_space:  global
        .offset:         64
        .size:           8
        .value_kind:     global_buffer
      - .address_space:  global
        .offset:         72
        .size:           8
        .value_kind:     global_buffer
      - .offset:         80
        .size:           4
        .value_kind:     by_value
      - .address_space:  global
        .offset:         88
        .size:           8
        .value_kind:     global_buffer
      - .address_space:  global
        .offset:         96
        .size:           8
        .value_kind:     global_buffer
    .group_segment_fixed_size: 12240
    .kernarg_segment_align: 8
    .kernarg_segment_size: 104
    .language:       OpenCL C
    .language_version:
      - 2
      - 0
    .max_flat_workgroup_size: 204
    .name:           bluestein_single_back_len1020_dim1_half_op_CI_CI
    .private_segment_fixed_size: 0
    .sgpr_count:     18
    .sgpr_spill_count: 0
    .symbol:         bluestein_single_back_len1020_dim1_half_op_CI_CI.kd
    .uniform_work_group_size: 1
    .uses_dynamic_stack: false
    .vgpr_count:     255
    .vgpr_spill_count: 0
    .wavefront_size: 32
    .workgroup_processor_mode: 1
amdhsa.target:   amdgcn-amd-amdhsa--gfx1030
amdhsa.version:
  - 1
  - 2
...

	.end_amdgpu_metadata
